;; amdgpu-corpus repo=ROCm/aiter kind=harvested arch=n/a opt=n/a

/root/src/amdgpu-assembly/repos/ROCm__aiter/hsa/gfx942/fmoe_fp8_g1u1_multix_subGU_256.co:	file format elf64-amdgpu

Disassembly of section .text:

0000000000002b00 <fmoe_fp8_g1u1_multix_subGU_256>:
	s_and_b32 s1, s1, 0xffff                                   // 000000002B00: 8601FF01 0000FFFF
	s_load_dwordx2 s[8:9], s[0:1], 0x0                         // 000000002B08: C0060200 00000000
	s_load_dwordx2 s[20:21], s[0:1], 0x10                      // 000000002B10: C0060500 00000010
	s_load_dwordx2 s[24:25], s[0:1], 0x20                      // 000000002B18: C0060600 00000020
	s_load_dwordx2 s[50:51], s[0:1], 0x30                      // 000000002B20: C0060C80 00000030
	s_load_dwordx2 s[12:13], s[0:1], 0x40                      // 000000002B28: C0060300 00000040
	s_load_dwordx2 s[28:29], s[0:1], 0x50                      // 000000002B30: C0060700 00000050
	s_load_dwordx2 s[32:33], s[0:1], 0x60                      // 000000002B38: C0060800 00000060
	s_load_dwordx2 s[16:17], s[0:1], 0x70                      // 000000002B40: C0060400 00000070
	s_load_dwordx2 s[36:37], s[0:1], 0x80                      // 000000002B48: C0060900 00000080
	s_load_dwordx2 s[44:45], s[0:1], 0x90                      // 000000002B50: C0060B00 00000090
	s_load_dwordx2 s[40:41], s[0:1], 0xa0                      // 000000002B58: C0060A00 000000A0
	s_load_dwordx2 s[46:47], s[0:1], 0xb0                      // 000000002B60: C0060B80 000000B0
	s_load_dword s64, s[0:1], 0xc0                             // 000000002B68: C0021000 000000C0
	s_load_dword s65, s[0:1], 0xd0                             // 000000002B70: C0021040 000000D0
	s_load_dword s66, s[0:1], 0xe0                             // 000000002B78: C0021080 000000E0
	s_load_dword s67, s[0:1], 0xf0                             // 000000002B80: C00210C0 000000F0
	s_load_dword s68, s[0:1], 0x100                            // 000000002B88: C0021100 00000100
	s_load_dword s69, s[0:1], 0x110                            // 000000002B90: C0021140 00000110
	s_load_dword s70, s[0:1], 0x120                            // 000000002B98: C0021180 00000120
	s_load_dword s71, s[0:1], 0x130                            // 000000002BA0: C00211C0 00000130
	s_load_dword s72, s[0:1], 0x140                            // 000000002BA8: C0021200 00000140
	s_load_dword s73, s[0:1], 0x150                            // 000000002BB0: C0021240 00000150
	s_load_dword s74, s[0:1], 0x160                            // 000000002BB8: C0021280 00000160
	s_load_dword s75, s[0:1], 0x170                            // 000000002BC0: C00212C0 00000170
	s_load_dword s76, s[0:1], 0x180                            // 000000002BC8: C0021300 00000180
	s_load_dword s63, s[0:1], 0x190                            // 000000002BD0: C0020FC0 00000190
	v_lshrrev_b32_e32 v1, 10, v0                               // 000000002BD8: 2002008A
	v_lshrrev_b32_e32 v2, 10, v1                               // 000000002BDC: 2004028A
	v_and_b32_e32 v2, 0x3ff, v2                                // 000000002BE0: 260404FF 000003FF
	v_and_b32_e32 v1, 0x3ff, v1                                // 000000002BE8: 260202FF 000003FF
	v_and_b32_e32 v0, 0x3ff, v0                                // 000000002BF0: 260000FF 000003FF
	v_lshrrev_b32_e32 v3, 6, v0                                // 000000002BF8: 20060086
	v_and_b32_e32 v0, 63, v0                                   // 000000002BFC: 260000BF
	s_mov_b32 s2, s2                                           // 000000002C00: BE820002
	s_mov_b32 s3, s3                                           // 000000002C04: BE830003
	s_mov_b32 s4, s4                                           // 000000002C08: BE840004
	v_readfirstlane_b32 s7, v3                                 // 000000002C0C: 7E0E0503
	s_waitcnt lgkmcnt(0)                                       // 000000002C10: BF8CC07F
	s_and_b32 s51, s51, 0xffff                                 // 000000002C14: 8633FF33 0000FFFF
	s_load_dword s50, s[50:51], 0x0                            // 000000002C1C: C0020C99 00000000
	s_and_b32 s45, s45, 0xffff                                 // 000000002C24: 862DFF2D 0000FFFF
	s_and_b32 s47, s47, 0xffff                                 // 000000002C2C: 862FFF2F 0000FFFF
	s_and_b32 s9, s9, 0xffff                                   // 000000002C34: 8609FF09 0000FFFF
	s_mul_i32 s60, s66, s68                                    // 000000002C3C: 923C4442
	s_mul_i32 s60, s63, s60                                    // 000000002C40: 923C3C3F
	s_mul_i32 s61, s66, 4                                      // 000000002C44: 923D8442
	s_mul_i32 s61, s63, s61                                    // 000000002C48: 923D3D3F
	s_mov_b32 s22, s60                                         // 000000002C4C: BE96003C
	s_mov_b32 s26, 0x80000000                                  // 000000002C50: BE9A00FF 80000000
	s_mov_b32 s14, 0x80000000                                  // 000000002C58: BE8E00FF 80000000
	s_mov_b32 s42, 0x80000000                                  // 000000002C60: BEAA00FF 80000000
	s_mov_b32 s30, s61                                         // 000000002C68: BE9E003D
	s_mov_b32 s34, 0x400                                       // 000000002C6C: BEA200FF 00000400
	s_mov_b32 s38, 0x400                                       // 000000002C74: BEA600FF 00000400
	s_mov_b32 s18, 0x80000000                                  // 000000002C7C: BE9200FF 80000000
	s_mov_b32 s23, 0x20000                                     // 000000002C84: BE9700FF 00020000
	s_mov_b32 s27, 0x20000                                     // 000000002C8C: BE9B00FF 00020000
	s_mov_b32 s15, 0x20000                                     // 000000002C94: BE8F00FF 00020000
	s_mov_b32 s43, 0x20000                                     // 000000002C9C: BEAB00FF 00020000
	s_mov_b32 s31, 0x20000                                     // 000000002CA4: BE9F00FF 00020000
	s_mov_b32 s35, 0x20000                                     // 000000002CAC: BEA300FF 00020000
	s_mov_b32 s39, 0x20000                                     // 000000002CB4: BEA700FF 00020000
	s_mov_b32 s19, 0x20000                                     // 000000002CBC: BE9300FF 00020000
	s_and_b32 s21, s21, 0xffff                                 // 000000002CC4: 8615FF15 0000FFFF
	s_and_b32 s25, s25, 0xffff                                 // 000000002CCC: 8619FF19 0000FFFF
	s_and_b32 s13, s13, 0xffff                                 // 000000002CD4: 860DFF0D 0000FFFF
	s_and_b32 s41, s41, 0xffff                                 // 000000002CDC: 8629FF29 0000FFFF
	s_and_b32 s29, s29, 0xffff                                 // 000000002CE4: 861DFF1D 0000FFFF
	s_and_b32 s33, s33, 0xffff                                 // 000000002CEC: 8621FF21 0000FFFF
	s_and_b32 s37, s37, 0xffff                                 // 000000002CF4: 8625FF25 0000FFFF
	s_and_b32 s17, s17, 0xffff                                 // 000000002CFC: 8611FF11 0000FFFF
	s_or_b32 s21, s21, 0x40000                                 // 000000002D04: 8715FF15 00040000
	s_or_b32 s25, s25, 0x40000                                 // 000000002D0C: 8719FF19 00040000
	s_or_b32 s13, s13, 0x40000                                 // 000000002D14: 870DFF0D 00040000
	s_or_b32 s41, s41, 0x40000                                 // 000000002D1C: 8729FF29 00040000
	s_or_b32 s29, s29, 0x40000                                 // 000000002D24: 871DFF1D 00040000
	s_or_b32 s33, s33, 0x40000                                 // 000000002D2C: 8721FF21 00040000
	s_or_b32 s37, s37, 0x40000                                 // 000000002D34: 8725FF25 00040000
	s_or_b32 s17, s17, 0x40000                                 // 000000002D3C: 8711FF11 00040000
	v_accvgpr_write_b32 a127, 0                                // 000000002D44: D3D9407F 18000080
	v_mov_b32_e32 v223, 0                                      // 000000002D4C: 7FBE0280
	s_waitcnt lgkmcnt(0)                                       // 000000002D50: BF8CC07F
	s_mul_i32 s60, s3, 32                                      // 000000002D54: 923CA003
	s_cmp_lt_i32 s60, s50                                      // 000000002D58: BF04323C
	s_cbranch_scc0 label_1999                                  // 000000002D5C: BF841901
	s_mov_b32 s80, 0                                           // 000000002D60: BED00080
	s_mov_b32 s81, s64                                         // 000000002D64: BED10040
	s_mul_i32 s60, s3, 4                                       // 000000002D68: 923C8403
	s_add_u32 s46, s60, s46                                    // 000000002D6C: 802E2E3C
	s_addc_u32 s47, 0, s47                                     // 000000002D70: 822F2F80
	s_load_dword s5, s[46:47], 0x0                             // 000000002D74: C0020157 00000000
	s_mul_i32 s60, s3, 32                                      // 000000002D7C: 923CA003
	s_mul_i32 s60, 4, s60                                      // 000000002D80: 923C3C84
	v_and_b32_e32 v46, 15, v0                                  // 000000002D84: 265C008F
	v_lshlrev_b32_e32 v46, 2, v46                              // 000000002D88: 245C5C82
	v_add_u32_e32 v46, s60, v46                                // 000000002D8C: 685C5C3C
	v_mov_b32_e32 v47, 0                                       // 000000002D90: 7E5E0280
	global_load_dword v6, v46, s[44:45]                        // 000000002D94: DC508000 062C002E
	v_add_u32_e32 v46, 64, v46                                 // 000000002D9C: 685C5CC0
	global_load_dword v7, v46, s[44:45]                        // 000000002DA0: DC508000 072C002E
	s_mul_i32 s60, s3, 32                                      // 000000002DA8: 923CA003
	s_add_u32 s60, s7, s60                                     // 000000002DAC: 803C3C07
	s_mul_i32 s60, 4, s60                                      // 000000002DB0: 923C3C84
	s_add_u32 s44, s60, s44                                    // 000000002DB4: 802C2C3C
	s_addc_u32 s45, 0, s45                                     // 000000002DB8: 822D2D80
	s_load_dword s82, s[44:45], 0x0                            // 000000002DBC: C0021496 00000000
	s_load_dword s83, s[44:45], 0x10                           // 000000002DC4: C00214D6 00000010
	s_load_dword s84, s[44:45], 0x20                           // 000000002DCC: C0021516 00000020
	s_load_dword s85, s[44:45], 0x30                           // 000000002DD4: C0021556 00000030
	s_load_dword s86, s[44:45], 0x40                           // 000000002DDC: C0021596 00000040
	s_load_dword s87, s[44:45], 0x50                           // 000000002DE4: C00215D6 00000050
	s_load_dword s88, s[44:45], 0x60                           // 000000002DEC: C0021616 00000060
	s_load_dword s89, s[44:45], 0x70                           // 000000002DF4: C0021656 00000070
	s_waitcnt lgkmcnt(0)                                       // 000000002DFC: BF8CC07F
	v_lshlrev_b32_e32 v46, 2, v0                               // 000000002E00: 245C0082
	s_lshr_b32 s61, s82, 24                                    // 000000002E04: 8F3D9852
	s_mul_i32 s61, s61, s68                                    // 000000002E08: 923D443D
	s_mul_i32 s61, s61, s66                                    // 000000002E0C: 923D423D
	s_and_b32 s82, s82, 0xffffff                               // 000000002E10: 8652FF52 00FFFFFF
	s_mul_i32 s60, s82, s68                                    // 000000002E18: 923C4452
	s_add_u32 s60, s61, s60                                    // 000000002E1C: 803C3C3D
	v_add_u32_e64 v24, v46, s60                                // 000000002E20: D1340018 0000792E
	s_lshr_b32 s61, s83, 24                                    // 000000002E28: 8F3D9853
	s_mul_i32 s61, s61, s68                                    // 000000002E2C: 923D443D
	s_mul_i32 s61, s61, s66                                    // 000000002E30: 923D423D
	s_and_b32 s83, s83, 0xffffff                               // 000000002E34: 8653FF53 00FFFFFF
	s_mul_i32 s60, s83, s68                                    // 000000002E3C: 923C4453
	s_add_u32 s60, s61, s60                                    // 000000002E40: 803C3C3D
	v_add_u32_e64 v25, v46, s60                                // 000000002E44: D1340019 0000792E
	s_lshr_b32 s61, s84, 24                                    // 000000002E4C: 8F3D9854
	s_mul_i32 s61, s61, s68                                    // 000000002E50: 923D443D
	s_mul_i32 s61, s61, s66                                    // 000000002E54: 923D423D
	s_and_b32 s84, s84, 0xffffff                               // 000000002E58: 8654FF54 00FFFFFF
	s_mul_i32 s60, s84, s68                                    // 000000002E60: 923C4454
	s_add_u32 s60, s61, s60                                    // 000000002E64: 803C3C3D
	v_add_u32_e64 v26, v46, s60                                // 000000002E68: D134001A 0000792E
	s_lshr_b32 s61, s85, 24                                    // 000000002E70: 8F3D9855
	s_mul_i32 s61, s61, s68                                    // 000000002E74: 923D443D
	s_mul_i32 s61, s61, s66                                    // 000000002E78: 923D423D
	s_and_b32 s85, s85, 0xffffff                               // 000000002E7C: 8655FF55 00FFFFFF
	s_mul_i32 s60, s85, s68                                    // 000000002E84: 923C4455
	s_add_u32 s60, s61, s60                                    // 000000002E88: 803C3C3D
	v_add_u32_e64 v27, v46, s60                                // 000000002E8C: D134001B 0000792E
	s_lshr_b32 s61, s86, 24                                    // 000000002E94: 8F3D9856
	s_mul_i32 s61, s61, s68                                    // 000000002E98: 923D443D
	s_mul_i32 s61, s61, s66                                    // 000000002E9C: 923D423D
	s_and_b32 s86, s86, 0xffffff                               // 000000002EA0: 8656FF56 00FFFFFF
	s_mul_i32 s60, s86, s68                                    // 000000002EA8: 923C4456
	s_add_u32 s60, s61, s60                                    // 000000002EAC: 803C3C3D
	v_add_u32_e64 v28, v46, s60                                // 000000002EB0: D134001C 0000792E
	s_lshr_b32 s61, s87, 24                                    // 000000002EB8: 8F3D9857
	s_mul_i32 s61, s61, s68                                    // 000000002EBC: 923D443D
	s_mul_i32 s61, s61, s66                                    // 000000002EC0: 923D423D
	s_and_b32 s87, s87, 0xffffff                               // 000000002EC4: 8657FF57 00FFFFFF
	s_mul_i32 s60, s87, s68                                    // 000000002ECC: 923C4457
	s_add_u32 s60, s61, s60                                    // 000000002ED0: 803C3C3D
	v_add_u32_e64 v29, v46, s60                                // 000000002ED4: D134001D 0000792E
	s_lshr_b32 s61, s88, 24                                    // 000000002EDC: 8F3D9858
	s_mul_i32 s61, s61, s68                                    // 000000002EE0: 923D443D
	s_mul_i32 s61, s61, s66                                    // 000000002EE4: 923D423D
	s_and_b32 s88, s88, 0xffffff                               // 000000002EE8: 8658FF58 00FFFFFF
	s_mul_i32 s60, s88, s68                                    // 000000002EF0: 923C4458
	s_add_u32 s60, s61, s60                                    // 000000002EF4: 803C3C3D
	v_add_u32_e64 v30, v46, s60                                // 000000002EF8: D134001E 0000792E
	s_lshr_b32 s61, s89, 24                                    // 000000002F00: 8F3D9859
	s_mul_i32 s61, s61, s68                                    // 000000002F04: 923D443D
	s_mul_i32 s61, s61, s66                                    // 000000002F08: 923D423D
	s_and_b32 s89, s89, 0xffffff                               // 000000002F0C: 8659FF59 00FFFFFF
	s_mul_i32 s60, s89, s68                                    // 000000002F14: 923C4459
	s_add_u32 s60, s61, s60                                    // 000000002F18: 803C3C3D
	v_add_u32_e64 v31, v46, s60                                // 000000002F1C: D134001F 0000792E
	v_lshlrev_b32_e32 v46, 2, v0                               // 000000002F24: 245C0082
	s_mul_i32 s60, s82, s71                                    // 000000002F28: 923C4752
	v_add_u32_e64 v80, v46, s60                                // 000000002F2C: D1340050 0000792E
	v_mov_b32_e32 v81, 0                                       // 000000002F34: 7EA20280
	s_mul_i32 s60, s83, s71                                    // 000000002F38: 923C4753
	v_add_u32_e64 v82, v46, s60                                // 000000002F3C: D1340052 0000792E
	v_mov_b32_e32 v83, 0                                       // 000000002F44: 7EA60280
	s_mul_i32 s60, s84, s71                                    // 000000002F48: 923C4754
	v_add_u32_e64 v84, v46, s60                                // 000000002F4C: D1340054 0000792E
	v_mov_b32_e32 v85, 0                                       // 000000002F54: 7EAA0280
	s_mul_i32 s60, s85, s71                                    // 000000002F58: 923C4755
	v_add_u32_e64 v86, v46, s60                                // 000000002F5C: D1340056 0000792E
	v_mov_b32_e32 v87, 0                                       // 000000002F64: 7EAE0280
	s_mul_i32 s60, s86, s71                                    // 000000002F68: 923C4756
	v_add_u32_e64 v88, v46, s60                                // 000000002F6C: D1340058 0000792E
	v_mov_b32_e32 v89, 0                                       // 000000002F74: 7EB20280
	s_mul_i32 s60, s87, s71                                    // 000000002F78: 923C4757
	v_add_u32_e64 v90, v46, s60                                // 000000002F7C: D134005A 0000792E
	v_mov_b32_e32 v91, 0                                       // 000000002F84: 7EB60280
	s_mul_i32 s60, s88, s71                                    // 000000002F88: 923C4758
	v_add_u32_e64 v92, v46, s60                                // 000000002F8C: D134005C 0000792E
	v_mov_b32_e32 v93, 0                                       // 000000002F94: 7EBA0280
	s_mul_i32 s60, s89, s71                                    // 000000002F98: 923C4759
	v_add_u32_e64 v94, v46, s60                                // 000000002F9C: D134005E 0000792E
	v_mov_b32_e32 v95, 0                                       // 000000002FA4: 7EBE0280
	s_mul_i32 s60, s7, 0x820                                   // 000000002FA8: 923CFF07 00000820
	s_add_u32 s50, 0, s60                                      // 000000002FB0: 80323C80
	s_add_u32 s51, 0x2080, s50                                 // 000000002FB4: 803332FF 00002080
	v_lshrrev_b32_e32 v46, 4, v0                               // 000000002FBC: 205C0084
	v_lshlrev_b32_e32 v47, 2, v46                              // 000000002FC0: 245E5C82
	v_and_b32_e32 v46, 15, v0                                  // 000000002FC4: 265C008F
	v_lshrrev_b32_e32 v48, 2, v46                              // 000000002FC8: 20605C82
	v_lshlrev_b32_e32 v48, 6, v48                              // 000000002FCC: 24606086
	v_add_u32_e32 v47, v48, v47                                // 000000002FD0: 685E5F30
	v_and_b32_e32 v46, 3, v0                                   // 000000002FD4: 265C0083
	v_mul_i32_i24_e32 v48, 0x208, v46                          // 000000002FD8: 0C605CFF 00000208
	v_add_u32_e32 v47, v48, v47                                // 000000002FE0: 685E5F30
	v_lshlrev_b32_e32 v2, 2, v47                               // 000000002FE4: 24045E82
	s_mul_i32 s60, s2, 0x100                                   // 000000002FE8: 923CFF02 00000100
	s_mul_i32 s60, s60, s69                                    // 000000002FF0: 923C453C
	s_mul_i32 s61, s5, s72                                     // 000000002FF4: 923D4805
	s_add_u32 s60, s61, s60                                    // 000000002FF8: 803C3C3D
	s_add_u32 s24, s60, s24                                    // 000000002FFC: 8018183C
	s_addc_u32 s25, 0, s25                                     // 000000003000: 82191980
	s_mul_i32 s60, s7, 16                                      // 000000003004: 923C9007
	s_mul_i32 s60, s60, s69                                    // 000000003008: 923C453C
	v_lshlrev_b32_e32 v32, 4, v0                               // 00000000300C: 24400084
	v_add_u32_e32 v32, s60, v32                                // 000000003010: 6840403C
	s_mul_i32 s60, 64, s69                                     // 000000003014: 923C45C0
	v_add_u32_e32 v33, s60, v32                                // 000000003018: 6842403C
	v_add_u32_e32 v34, s60, v33                                // 00000000301C: 6844423C
	v_add_u32_e32 v35, s60, v34                                // 000000003020: 6846443C
	s_mov_b32 s92, s24                                         // 000000003024: BEDC0018
	s_mov_b32 s93, s25                                         // 000000003028: BEDD0019
	s_mov_b32 s94, s26                                         // 00000000302C: BEDE001A
	s_mov_b32 s95, s27                                         // 000000003030: BEDF001B
	s_mul_i32 s60, s69, s65                                    // 000000003034: 923C4145
	s_add_u32 s92, s60, s92                                    // 000000003038: 805C5C3C
	s_addc_u32 s93, 0, s93                                     // 00000000303C: 825D5D80
	s_mul_i32 s60, s2, 0x1000                                  // 000000003040: 923CFF02 00001000
	s_mul_i32 s61, s5, s73                                     // 000000003048: 923D4905
	s_add_u32 s60, s61, s60                                    // 00000000304C: 803C3C3D
	s_add_u32 s12, s60, s12                                    // 000000003050: 800C0C3C
	s_addc_u32 s13, 0, s13                                     // 000000003054: 820D0D80
	s_mul_i32 s60, s7, 16                                      // 000000003058: 923C9007
	s_mul_i32 s60, s60, s70                                    // 00000000305C: 923C463C
	v_lshlrev_b32_e32 v36, 4, v0                               // 000000003060: 24480084
	v_add_u32_e32 v36, s60, v36                                // 000000003064: 6848483C
	s_mul_i32 s60, 64, s70                                     // 000000003068: 923C46C0
	v_add_u32_e32 v37, s60, v36                                // 00000000306C: 684A483C
	v_add_u32_e32 v38, s60, v37                                // 000000003070: 684C4A3C
	v_add_u32_e32 v39, s60, v38                                // 000000003074: 684E4C3C
	s_mul_i32 s60, s70, 0x100                                  // 000000003078: 923CFF46 00000100
	s_mov_b32 s78, 0x400                                       // 000000003080: BECE00FF 00000400
	s_mul_i32 s61, s78, 3                                      // 000000003088: 923D834E
	s_sub_u32 s56, s60, s61                                    // 00000000308C: 80B83D3C
	s_mul_i32 s60, s3, 32                                      // 000000003090: 923CA003
	s_mul_i32 s60, 4, s60                                      // 000000003094: 923C3C84
	s_add_u32 s40, s60, s40                                    // 000000003098: 8028283C
	s_addc_u32 s41, 0, s41                                     // 00000000309C: 82292980
	v_and_b32_e32 v46, 15, v0                                  // 0000000030A0: 265C008F
	v_lshlrev_b32_e32 v8, 2, v46                               // 0000000030A4: 24105C82
	v_add_u32_e32 v9, 64, v8                                   // 0000000030A8: 681210C0
	v_lshrrev_b32_e32 v46, 4, v0                               // 0000000030AC: 205C0084
	v_lshlrev_b32_e32 v47, 2, v46                              // 0000000030B0: 245E5C82
	v_and_b32_e32 v46, 15, v0                                  // 0000000030B4: 265C008F
	v_lshrrev_b32_e32 v48, 2, v46                              // 0000000030B8: 20605C82
	v_lshlrev_b32_e32 v48, 6, v48                              // 0000000030BC: 24606086
	v_add_u32_e32 v47, v48, v47                                // 0000000030C0: 685E5F30
	v_and_b32_e32 v46, 3, v0                                   // 0000000030C4: 265C0083
	v_add_u32_e32 v47, v46, v47                                // 0000000030C8: 685E5F2E
	v_lshlrev_b32_e32 v10, 2, v47                              // 0000000030CC: 24145E82
	v_add_u32_e32 v11, 0x400, v10                              // 0000000030D0: 681614FF 00000400
	s_mul_i32 s60, s7, 16                                      // 0000000030D8: 923C9007
	s_mul_i32 s60, s60, 4                                      // 0000000030DC: 923C843C
	v_add_u32_e32 v10, s60, v10                                // 0000000030E0: 6814143C
	v_add_u32_e32 v11, s60, v11                                // 0000000030E4: 6816163C
	v_mov_b32_e32 v5, v10                                      // 0000000030E8: 7E0A030A
	s_mul_i32 s60, s2, 0x100                                   // 0000000030EC: 923CFF02 00000100
	s_mul_i32 s60, s60, 4                                      // 0000000030F4: 923C843C
	s_mul_i32 s61, s5, s74                                     // 0000000030F8: 923D4A05
	s_add_u32 s61, s61, s60                                    // 0000000030FC: 803D3C3D
	s_mul_i32 s62, s5, s76                                     // 000000003100: 923E4C05
	s_add_u32 s62, s62, s60                                    // 000000003104: 803E3C3E
	s_add_u32 s32, s61, s32                                    // 000000003108: 8020203D
	s_addc_u32 s33, 0, s33                                     // 00000000310C: 82212180
	s_add_u32 s36, s62, s36                                    // 000000003110: 8024243E
	s_addc_u32 s37, 0, s37                                     // 000000003114: 82252580
	s_mul_i32 s60, s5, s75                                     // 000000003118: 923C4B05
	s_add_u32 s16, s60, s16                                    // 00000000311C: 8010103C
	s_addc_u32 s17, 0, s17                                     // 000000003120: 82111180
	s_mov_b32 s57, 0x100                                       // 000000003124: BEB900FF 00000100
	s_mov_b32 s58, 0x1000                                      // 00000000312C: BEBA00FF 00001000
	s_mov_b32 s79, 0x400                                       // 000000003134: BECF00FF 00000400
	s_mov_b32 s59, 0x200                                       // 00000000313C: BEBB00FF 00000200
	s_mov_b32 s90, s58                                         // 000000003144: BEDA003A
	s_mov_b32 s52, 0x7060302                                   // 000000003148: BEB400FF 07060302
	s_mov_b32 s53, 0x400                                       // 000000003150: BEB500FF 00000400
	s_mov_b32 s54, 0x40100                                     // 000000003158: BEB600FF 00040100
	s_mov_b32 s55, 0x4020100                                   // 000000003160: BEB700FF 04020100
	s_mov_b32 s6, 0x3fb8aa3b                                   // 000000003168: BE8600FF 3FB8AA3B
	s_mov_b32 s77, 0xbd92220c                                  // 000000003170: BECD00FF BD92220C
	s_mov_b32 m0, s50                                          // 000000003178: BEFC0032
	v_mov_b32_e32 v1, 0xbfcc4231                               // 00000000317C: 7E0202FF BFCC4231
	v_mov_b32_e32 v41, 0xffff0000                              // 000000003184: 7E5202FF FFFF0000
	v_mov_b32_e32 v42, 0x7fff0000                              // 00000000318C: 7E5402FF 7FFF0000
	v_mov_b32_e32 v43, 0x7fff                                  // 000000003194: 7E5602FF 00007FFF
	s_waitcnt vmcnt(0) expcnt(0) lgkmcnt(0)                    // 00000000319C: BF8C0000
	v_lshrrev_b32_e32 v46, 24, v6                              // 0000000031A0: 205C0C98
	v_mul_i32_i24_e32 v46, s66, v46                            // 0000000031A4: 0C5C5C42
	v_and_b32_e32 v47, 0xffffff, v6                            // 0000000031A8: 265E0CFF 00FFFFFF
	v_add_u32_e32 v6, v46, v47                                 // 0000000031B0: 680C5F2E
	v_lshrrev_b32_e32 v46, 24, v7                              // 0000000031B4: 205C0E98
	v_mul_i32_i24_e32 v46, s66, v46                            // 0000000031B8: 0C5C5C42
	v_and_b32_e32 v47, 0xffffff, v7                            // 0000000031BC: 265E0EFF 00FFFFFF
	v_add_u32_e32 v7, v46, v47                                 // 0000000031C4: 680E5F2E
	v_lshlrev_b32_e32 v6, 2, v6                                // 0000000031C8: 240C0C82
	v_lshlrev_b32_e32 v7, 2, v7                                // 0000000031CC: 240E0E82
	buffer_load_dword v13, v6, s[28:31], 0 offen               // 0000000031D0: E0501000 80070D06
	buffer_load_dword v14, v7, s[28:31], 0 offen               // 0000000031D8: E0501000 80070E07
	buffer_load_dword v15, v10, s[32:35], 0 offen              // 0000000031E0: E0501000 80080F0A
	buffer_load_dword v16, v11, s[32:35], 0 offen              // 0000000031E8: E0501000 8008100B
	s_mul_i32 s60, 4, s65                                      // 0000000031F0: 923C4184
	s_add_u32 s32, s60, s32                                    // 0000000031F4: 8020203C
	s_addc_u32 s33, 0, s33                                     // 0000000031F8: 82212180
	buffer_load_dword v44, v10, s[32:35], 0 offen              // 0000000031FC: E0501000 80082C0A
	buffer_load_dword v45, v11, s[32:35], 0 offen              // 000000003204: E0501000 80082D0B
	buffer_load_dword v16, v10, s[36:39], 0 offen              // 00000000320C: E0501000 8009100A
	buffer_load_dword v17, v11, s[36:39], 0 offen              // 000000003214: E0501000 8009110B
	buffer_load_dword v17, v8, s[40:43], 0 offen               // 00000000321C: E0501000 800A1108
	buffer_load_dword v18, v9, s[40:43], 0 offen               // 000000003224: E0501000 800A1209
	buffer_load_dword v24, s[20:23], 0 offen lds               // 00000000322C: E0511000 80050018
	s_add_u32 m0, 0x100, s50                                   // 000000003234: 807C32FF 00000100
	buffer_load_dword v25, s[20:23], 0 offen lds               // 00000000323C: E0511000 80050019
	s_add_u32 m0, 0x200, s50                                   // 000000003244: 807C32FF 00000200
	buffer_load_dword v26, s[20:23], 0 offen lds               // 00000000324C: E0511000 8005001A
	s_add_u32 m0, 0x300, s50                                   // 000000003254: 807C32FF 00000300
	buffer_load_dword v27, s[20:23], 0 offen lds               // 00000000325C: E0511000 8005001B
	s_add_u32 m0, 0x400, s50                                   // 000000003264: 807C32FF 00000400
	buffer_load_dword v28, s[20:23], 0 offen lds               // 00000000326C: E0511000 8005001C
	s_add_u32 m0, 0x500, s50                                   // 000000003274: 807C32FF 00000500
	buffer_load_dword v29, s[20:23], 0 offen lds               // 00000000327C: E0511000 8005001D
	s_add_u32 m0, 0x600, s50                                   // 000000003284: 807C32FF 00000600
	buffer_load_dword v30, s[20:23], 0 offen lds               // 00000000328C: E0511000 8005001E
	s_add_u32 m0, 0x700, s50                                   // 000000003294: 807C32FF 00000700
	buffer_load_dword v31, s[20:23], 0 offen lds               // 00000000329C: E0511000 8005001F
	s_add_u32 m0, 0, s51                                       // 0000000032A4: 807C3380
	s_add_u32 s20, s57, s20                                    // 0000000032A8: 80141439
	s_addc_u32 s21, 0, s21                                     // 0000000032AC: 82151580
	buffer_load_dwordx4 a[0:3], v32, s[24:27], 0 offen         // 0000000032B0: E05C1000 80860020
	buffer_load_dwordx4 a[4:7], v32, s[24:27], 0 offen offset:1024// 0000000032B8: E05C1400 80860420
	buffer_load_dwordx4 a[8:11], v32, s[24:27], 0 offen offset:2048// 0000000032C0: E05C1800 80860820
	buffer_load_dwordx4 a[12:15], v32, s[24:27], 0 offen offset:3072// 0000000032C8: E05C1C00 80860C20
	buffer_load_dwordx4 a[16:19], v33, s[24:27], 0 offen       // 0000000032D0: E05C1000 80861021
	buffer_load_dwordx4 a[20:23], v33, s[24:27], 0 offen offset:1024// 0000000032D8: E05C1400 80861421
	buffer_load_dwordx4 a[24:27], v33, s[24:27], 0 offen offset:2048// 0000000032E0: E05C1800 80861821
	buffer_load_dwordx4 a[28:31], v33, s[24:27], 0 offen offset:3072// 0000000032E8: E05C1C00 80861C21
	buffer_load_dwordx4 a[32:35], v34, s[24:27], 0 offen       // 0000000032F0: E05C1000 80862022
	buffer_load_dwordx4 a[36:39], v34, s[24:27], 0 offen offset:1024// 0000000032F8: E05C1400 80862422
	buffer_load_dwordx4 a[40:43], v34, s[24:27], 0 offen offset:2048// 000000003300: E05C1800 80862822
	buffer_load_dwordx4 a[44:47], v34, s[24:27], 0 offen offset:3072// 000000003308: E05C1C00 80862C22
	buffer_load_dwordx4 a[48:51], v35, s[24:27], 0 offen       // 000000003310: E05C1000 80863023
	buffer_load_dwordx4 a[52:55], v35, s[24:27], 0 offen offset:1024// 000000003318: E05C1400 80863423
	buffer_load_dwordx4 a[56:59], v35, s[24:27], 0 offen offset:2048// 000000003320: E05C1800 80863823
	buffer_load_dwordx4 a[60:63], v35, s[24:27], 0 offen offset:3072// 000000003328: E05C1C00 80863C23
	s_add_u32 s24, s58, s24                                    // 000000003330: 8018183A
	s_addc_u32 s25, 0, s25                                     // 000000003334: 82191980
	v_mov_b32_e32 v128, 0                                      // 000000003338: 7F000280
	v_mov_b32_e32 v64, 0                                       // 00000000333C: 7E800280
	v_mov_b32_e32 v129, 0                                      // 000000003340: 7F020280
	v_mov_b32_e32 v65, 0                                       // 000000003344: 7E820280
	v_mov_b32_e32 v130, 0                                      // 000000003348: 7F040280
	v_mov_b32_e32 v66, 0                                       // 00000000334C: 7E840280
	v_mov_b32_e32 v131, 0                                      // 000000003350: 7F060280
	v_mov_b32_e32 v67, 0                                       // 000000003354: 7E860280
	v_mov_b32_e32 v132, 0                                      // 000000003358: 7F080280
	v_mov_b32_e32 v68, 0                                       // 00000000335C: 7E880280
	v_mov_b32_e32 v133, 0                                      // 000000003360: 7F0A0280
	v_mov_b32_e32 v69, 0                                       // 000000003364: 7E8A0280
	v_mov_b32_e32 v134, 0                                      // 000000003368: 7F0C0280
	v_mov_b32_e32 v70, 0                                       // 00000000336C: 7E8C0280
	v_mov_b32_e32 v135, 0                                      // 000000003370: 7F0E0280
	v_mov_b32_e32 v71, 0                                       // 000000003374: 7E8E0280
	v_mov_b32_e32 v136, 0                                      // 000000003378: 7F100280
	v_mov_b32_e32 v72, 0                                       // 00000000337C: 7E900280
	v_mov_b32_e32 v137, 0                                      // 000000003380: 7F120280
	v_mov_b32_e32 v73, 0                                       // 000000003384: 7E920280
	v_mov_b32_e32 v138, 0                                      // 000000003388: 7F140280
	v_mov_b32_e32 v74, 0                                       // 00000000338C: 7E940280
	v_mov_b32_e32 v139, 0                                      // 000000003390: 7F160280
	v_mov_b32_e32 v75, 0                                       // 000000003394: 7E960280
	v_mov_b32_e32 v140, 0                                      // 000000003398: 7F180280
	v_mov_b32_e32 v76, 0                                       // 00000000339C: 7E980280
	v_mov_b32_e32 v141, 0                                      // 0000000033A0: 7F1A0280
	v_mov_b32_e32 v77, 0                                       // 0000000033A4: 7E9A0280
	v_mov_b32_e32 v142, 0                                      // 0000000033A8: 7F1C0280
	v_mov_b32_e32 v78, 0                                       // 0000000033AC: 7E9C0280
	v_mov_b32_e32 v143, 0                                      // 0000000033B0: 7F1E0280
	v_mov_b32_e32 v79, 0                                       // 0000000033B4: 7E9E0280
	v_mov_b32_e32 v144, 0                                      // 0000000033B8: 7F200280
	v_mov_b32_e32 v80, 0                                       // 0000000033BC: 7EA00280
	v_mov_b32_e32 v145, 0                                      // 0000000033C0: 7F220280
	v_mov_b32_e32 v81, 0                                       // 0000000033C4: 7EA20280
	v_mov_b32_e32 v146, 0                                      // 0000000033C8: 7F240280
	v_mov_b32_e32 v82, 0                                       // 0000000033CC: 7EA40280
	v_mov_b32_e32 v147, 0                                      // 0000000033D0: 7F260280
	v_mov_b32_e32 v83, 0                                       // 0000000033D4: 7EA60280
	v_mov_b32_e32 v148, 0                                      // 0000000033D8: 7F280280
	v_mov_b32_e32 v84, 0                                       // 0000000033DC: 7EA80280
	v_mov_b32_e32 v149, 0                                      // 0000000033E0: 7F2A0280
	v_mov_b32_e32 v85, 0                                       // 0000000033E4: 7EAA0280
	v_mov_b32_e32 v150, 0                                      // 0000000033E8: 7F2C0280
	v_mov_b32_e32 v86, 0                                       // 0000000033EC: 7EAC0280
	v_mov_b32_e32 v151, 0                                      // 0000000033F0: 7F2E0280
	v_mov_b32_e32 v87, 0                                       // 0000000033F4: 7EAE0280
	v_mov_b32_e32 v152, 0                                      // 0000000033F8: 7F300280
	v_mov_b32_e32 v88, 0                                       // 0000000033FC: 7EB00280
	v_mov_b32_e32 v153, 0                                      // 000000003400: 7F320280
	v_mov_b32_e32 v89, 0                                       // 000000003404: 7EB20280
	v_mov_b32_e32 v154, 0                                      // 000000003408: 7F340280
	v_mov_b32_e32 v90, 0                                       // 00000000340C: 7EB40280
	v_mov_b32_e32 v155, 0                                      // 000000003410: 7F360280
	v_mov_b32_e32 v91, 0                                       // 000000003414: 7EB60280
	v_mov_b32_e32 v156, 0                                      // 000000003418: 7F380280
	v_mov_b32_e32 v92, 0                                       // 00000000341C: 7EB80280
	v_mov_b32_e32 v157, 0                                      // 000000003420: 7F3A0280
	v_mov_b32_e32 v93, 0                                       // 000000003424: 7EBA0280
	v_mov_b32_e32 v158, 0                                      // 000000003428: 7F3C0280
	v_mov_b32_e32 v94, 0                                       // 00000000342C: 7EBC0280
	v_mov_b32_e32 v159, 0                                      // 000000003430: 7F3E0280
	v_mov_b32_e32 v95, 0                                       // 000000003434: 7EBE0280
	v_lshrrev_b32_e32 v46, 4, v0                               // 000000003438: 205C0084
	v_mul_i32_i24_e32 v3, 34, v46                              // 00000000343C: 0C065CA2
	v_and_b32_e32 v46, 15, v0                                  // 000000003440: 265C008F
	v_mul_i32_i24_e32 v47, 2, v46                              // 000000003444: 0C5E5C82
	v_add_u32_e32 v3, v47, v3                                  // 000000003448: 6806072F
	s_mul_i32 s60, s7, 0x88                                    // 00000000344C: 923CFF07 00000088
	v_add_u32_e32 v3, s60, v3                                  // 000000003454: 6806063C
	v_lshlrev_b32_e32 v3, 2, v3                                // 000000003458: 24060682
	v_lshrrev_b32_e32 v46, 1, v0                               // 00000000345C: 205C0081
	v_mul_i32_i24_e32 v4, 34, v46                              // 000000003460: 0C085CA2
	v_and_b32_e32 v47, 1, v0                                   // 000000003464: 265E0081
	v_add_u32_e32 v4, v47, v4                                  // 000000003468: 6808092F
	s_mul_i32 s60, s7, 2                                       // 00000000346C: 923C8207
	v_add_u32_e32 v4, s60, v4                                  // 000000003470: 6808083C
	v_lshlrev_b32_e32 v4, 2, v4                                // 000000003474: 24080882
	s_waitcnt vmcnt(16)                                        // 000000003478: BF8C4F70
	s_barrier                                                  // 00000000347C: BF8A0000
	ds_read_b128 v[160:163], v2                                // 000000003480: D9FE0000 A0000002
	ds_read_b128 v[164:167], v2 offset:64                      // 000000003488: D9FE0040 A4000002
	ds_read_b128 v[168:171], v2 offset:128                     // 000000003490: D9FE0080 A8000002
	ds_read_b128 v[172:175], v2 offset:192                     // 000000003498: D9FE00C0 AC000002
	ds_read_b128 v[176:179], v2 offset:1024                    // 0000000034A0: D9FE0400 B0000002
	ds_read_b128 v[180:183], v2 offset:1088                    // 0000000034A8: D9FE0440 B4000002
	ds_read_b128 v[184:187], v2 offset:1152                    // 0000000034B0: D9FE0480 B8000002
	ds_read_b128 v[188:191], v2 offset:1216                    // 0000000034B8: D9FE04C0 BC000002
	s_cmp_lt_i32 s7, 2                                         // 0000000034C0: BF048207
	s_cbranch_scc0 label_0E07                                  // 0000000034C4: BF840B95

00000000000034c8 <label_0272>:
	s_waitcnt vmcnt(8) lgkmcnt(0)                              // 0000000034C8: BF8C0078
	s_barrier                                                  // 0000000034CC: BF8A0000
	v_mfma_f32_16x16x32_fp8_fp8 v[128:131], a[0:1], v[160:161], v[128:131]// 0000000034D0: D3F30080 0E034100
	v_mfma_f32_16x16x32_fp8_fp8 v[128:131], a[2:3], v[162:163], v[128:131]// 0000000034D8: D3F30080 0E034502
	buffer_load_dwordx4 a[64:67], v32, s[92:95], 0 offen       // 0000000034E0: E05C1000 80974020
	v_mfma_f32_16x16x32_fp8_fp8 v[128:131], a[4:5], v[164:165], v[128:131]// 0000000034E8: D3F30080 0E034904
	v_mfma_f32_16x16x32_fp8_fp8 v[128:131], a[6:7], v[166:167], v[128:131]// 0000000034F0: D3F30080 0E034D06
	buffer_load_dword v24, s[20:23], 0 offen lds               // 0000000034F8: E0511000 80050018
	s_add_u32 m0, 0x100, s51                                   // 000000003500: 807C33FF 00000100
	v_mfma_f32_16x16x32_fp8_fp8 v[128:131], a[8:9], v[168:169], v[128:131]// 000000003508: D3F30080 0E035108
	v_mfma_f32_16x16x32_fp8_fp8 v[128:131], a[10:11], v[170:171], v[128:131]// 000000003510: D3F30080 0E03550A
	buffer_load_dwordx4 a[68:71], v32, s[92:95], 0 offen offset:1024// 000000003518: E05C1400 80974420
	v_mfma_f32_16x16x32_fp8_fp8 v[128:131], a[12:13], v[172:173], v[128:131]// 000000003520: D3F30080 0E03590C
	v_mfma_f32_16x16x32_fp8_fp8 v[128:131], a[14:15], v[174:175], v[128:131]// 000000003528: D3F30080 0E035D0E
	buffer_load_dword v25, s[20:23], 0 offen lds               // 000000003530: E0511000 80050019
	s_add_u32 m0, 0x200, s51                                   // 000000003538: 807C33FF 00000200
	v_mfma_f32_16x16x32_fp8_fp8 v[132:135], a[0:1], v[176:177], v[132:135]// 000000003540: D3F30084 0E136100
	v_mfma_f32_16x16x32_fp8_fp8 v[132:135], a[2:3], v[178:179], v[132:135]// 000000003548: D3F30084 0E136502
	buffer_load_dwordx4 a[72:75], v32, s[92:95], 0 offen offset:2048// 000000003550: E05C1800 80974820
	v_mfma_f32_16x16x32_fp8_fp8 v[132:135], a[4:5], v[180:181], v[132:135]// 000000003558: D3F30084 0E136904
	v_mfma_f32_16x16x32_fp8_fp8 v[132:135], a[6:7], v[182:183], v[132:135]// 000000003560: D3F30084 0E136D06
	buffer_load_dword v26, s[20:23], 0 offen lds               // 000000003568: E0511000 8005001A
	s_add_u32 m0, 0x300, s51                                   // 000000003570: 807C33FF 00000300
	v_mfma_f32_16x16x32_fp8_fp8 v[132:135], a[8:9], v[184:185], v[132:135]// 000000003578: D3F30084 0E137108
	v_mfma_f32_16x16x32_fp8_fp8 v[132:135], a[10:11], v[186:187], v[132:135]// 000000003580: D3F30084 0E13750A
	buffer_load_dwordx4 a[76:79], v32, s[92:95], 0 offen offset:3072// 000000003588: E05C1C00 80974C20
	v_mfma_f32_16x16x32_fp8_fp8 v[132:135], a[12:13], v[188:189], v[132:135]// 000000003590: D3F30084 0E13790C
	v_mfma_f32_16x16x32_fp8_fp8 v[132:135], a[14:15], v[190:191], v[132:135]// 000000003598: D3F30084 0E137D0E
	buffer_load_dword v27, s[20:23], 0 offen lds               // 0000000035A0: E0511000 8005001B
	s_add_u32 m0, 0x400, s51                                   // 0000000035A8: 807C33FF 00000400
	v_mfma_f32_16x16x32_fp8_fp8 v[136:139], a[16:17], v[160:161], v[136:139]// 0000000035B0: D3F30088 0E234110
	v_mfma_f32_16x16x32_fp8_fp8 v[136:139], a[18:19], v[162:163], v[136:139]// 0000000035B8: D3F30088 0E234512
	buffer_load_dwordx4 a[80:83], v33, s[92:95], 0 offen       // 0000000035C0: E05C1000 80975021
	v_mfma_f32_16x16x32_fp8_fp8 v[136:139], a[20:21], v[164:165], v[136:139]// 0000000035C8: D3F30088 0E234914
	v_mfma_f32_16x16x32_fp8_fp8 v[136:139], a[22:23], v[166:167], v[136:139]// 0000000035D0: D3F30088 0E234D16
	buffer_load_dword v28, s[20:23], 0 offen lds               // 0000000035D8: E0511000 8005001C
	s_add_u32 m0, 0x500, s51                                   // 0000000035E0: 807C33FF 00000500
	v_mfma_f32_16x16x32_fp8_fp8 v[136:139], a[24:25], v[168:169], v[136:139]// 0000000035E8: D3F30088 0E235118
	v_mfma_f32_16x16x32_fp8_fp8 v[136:139], a[26:27], v[170:171], v[136:139]// 0000000035F0: D3F30088 0E23551A
	buffer_load_dwordx4 a[84:87], v33, s[92:95], 0 offen offset:1024// 0000000035F8: E05C1400 80975421
	v_mfma_f32_16x16x32_fp8_fp8 v[136:139], a[28:29], v[172:173], v[136:139]// 000000003600: D3F30088 0E23591C
	v_mfma_f32_16x16x32_fp8_fp8 v[136:139], a[30:31], v[174:175], v[136:139]// 000000003608: D3F30088 0E235D1E
	buffer_load_dword v29, s[20:23], 0 offen lds               // 000000003610: E0511000 8005001D
	s_add_u32 m0, 0x600, s51                                   // 000000003618: 807C33FF 00000600
	v_mfma_f32_16x16x32_fp8_fp8 v[140:143], a[16:17], v[176:177], v[140:143]// 000000003620: D3F3008C 0E336110
	v_mfma_f32_16x16x32_fp8_fp8 v[140:143], a[18:19], v[178:179], v[140:143]// 000000003628: D3F3008C 0E336512
	buffer_load_dwordx4 a[88:91], v33, s[92:95], 0 offen offset:2048// 000000003630: E05C1800 80975821
	v_mfma_f32_16x16x32_fp8_fp8 v[140:143], a[20:21], v[180:181], v[140:143]// 000000003638: D3F3008C 0E336914
	v_mfma_f32_16x16x32_fp8_fp8 v[140:143], a[22:23], v[182:183], v[140:143]// 000000003640: D3F3008C 0E336D16
	buffer_load_dword v30, s[20:23], 0 offen lds               // 000000003648: E0511000 8005001E
	s_add_u32 m0, 0x700, s51                                   // 000000003650: 807C33FF 00000700
	v_mfma_f32_16x16x32_fp8_fp8 v[140:143], a[24:25], v[184:185], v[140:143]// 000000003658: D3F3008C 0E337118
	v_mfma_f32_16x16x32_fp8_fp8 v[140:143], a[26:27], v[186:187], v[140:143]// 000000003660: D3F3008C 0E33751A
	buffer_load_dwordx4 a[92:95], v33, s[92:95], 0 offen offset:3072// 000000003668: E05C1C00 80975C21
	v_mfma_f32_16x16x32_fp8_fp8 v[140:143], a[28:29], v[188:189], v[140:143]// 000000003670: D3F3008C 0E33791C
	v_mfma_f32_16x16x32_fp8_fp8 v[140:143], a[30:31], v[190:191], v[140:143]// 000000003678: D3F3008C 0E337D1E
	buffer_load_dword v31, s[20:23], 0 offen lds               // 000000003680: E0511000 8005001F
	s_add_u32 m0, 0, s50                                       // 000000003688: 807C3280
	s_waitcnt vmcnt(20)                                        // 00000000368C: BF8C4F74
	v_mfma_f32_16x16x32_fp8_fp8 v[144:147], a[32:33], v[160:161], v[144:147]// 000000003690: D3F30090 0E434120
	v_mfma_f32_16x16x32_fp8_fp8 v[144:147], a[34:35], v[162:163], v[144:147]// 000000003698: D3F30090 0E434522
	buffer_load_dwordx4 a[96:99], v34, s[92:95], 0 offen       // 0000000036A0: E05C1000 80976022
	v_mfma_f32_16x16x32_fp8_fp8 v[144:147], a[36:37], v[164:165], v[144:147]// 0000000036A8: D3F30090 0E434924
	v_mfma_f32_16x16x32_fp8_fp8 v[144:147], a[38:39], v[166:167], v[144:147]// 0000000036B0: D3F30090 0E434D26
	v_mfma_f32_16x16x32_fp8_fp8 v[144:147], a[40:41], v[168:169], v[144:147]// 0000000036B8: D3F30090 0E435128
	v_mfma_f32_16x16x32_fp8_fp8 v[144:147], a[42:43], v[170:171], v[144:147]// 0000000036C0: D3F30090 0E43552A
	buffer_load_dwordx4 a[100:103], v34, s[92:95], 0 offen offset:1024// 0000000036C8: E05C1400 80976422
	v_mfma_f32_16x16x32_fp8_fp8 v[144:147], a[44:45], v[172:173], v[144:147]// 0000000036D0: D3F30090 0E43592C
	v_mfma_f32_16x16x32_fp8_fp8 v[144:147], a[46:47], v[174:175], v[144:147]// 0000000036D8: D3F30090 0E435D2E
	v_mfma_f32_16x16x32_fp8_fp8 v[148:151], a[32:33], v[176:177], v[148:151]// 0000000036E0: D3F30094 0E536120
	v_mfma_f32_16x16x32_fp8_fp8 v[148:151], a[34:35], v[178:179], v[148:151]// 0000000036E8: D3F30094 0E536522
	buffer_load_dwordx4 a[104:107], v34, s[92:95], 0 offen offset:2048// 0000000036F0: E05C1800 80976822
	v_mfma_f32_16x16x32_fp8_fp8 v[148:151], a[36:37], v[180:181], v[148:151]// 0000000036F8: D3F30094 0E536924
	v_mfma_f32_16x16x32_fp8_fp8 v[148:151], a[38:39], v[182:183], v[148:151]// 000000003700: D3F30094 0E536D26
	v_mfma_f32_16x16x32_fp8_fp8 v[148:151], a[40:41], v[184:185], v[148:151]// 000000003708: D3F30094 0E537128
	v_mfma_f32_16x16x32_fp8_fp8 v[148:151], a[42:43], v[186:187], v[148:151]// 000000003710: D3F30094 0E53752A
	buffer_load_dwordx4 a[108:111], v34, s[92:95], 0 offen offset:3072// 000000003718: E05C1C00 80976C22
	v_mfma_f32_16x16x32_fp8_fp8 v[148:151], a[44:45], v[188:189], v[148:151]// 000000003720: D3F30094 0E53792C
	v_mfma_f32_16x16x32_fp8_fp8 v[148:151], a[46:47], v[190:191], v[148:151]// 000000003728: D3F30094 0E537D2E
	s_waitcnt vmcnt(20)                                        // 000000003730: BF8C4F74
	v_mfma_f32_16x16x32_fp8_fp8 v[152:155], a[48:49], v[160:161], v[152:155]// 000000003734: D3F30098 0E634130
	v_mfma_f32_16x16x32_fp8_fp8 v[152:155], a[50:51], v[162:163], v[152:155]// 00000000373C: D3F30098 0E634532
	buffer_load_dwordx4 a[112:115], v35, s[92:95], 0 offen     // 000000003744: E05C1000 80977023
	v_mfma_f32_16x16x32_fp8_fp8 v[152:155], a[52:53], v[164:165], v[152:155]// 00000000374C: D3F30098 0E634934
	v_mfma_f32_16x16x32_fp8_fp8 v[152:155], a[54:55], v[166:167], v[152:155]// 000000003754: D3F30098 0E634D36
	v_mfma_f32_16x16x32_fp8_fp8 v[152:155], a[56:57], v[168:169], v[152:155]// 00000000375C: D3F30098 0E635138
	v_mfma_f32_16x16x32_fp8_fp8 v[152:155], a[58:59], v[170:171], v[152:155]// 000000003764: D3F30098 0E63553A
	buffer_load_dwordx4 a[116:119], v35, s[92:95], 0 offen offset:1024// 00000000376C: E05C1400 80977423
	v_mfma_f32_16x16x32_fp8_fp8 v[152:155], a[60:61], v[172:173], v[152:155]// 000000003774: D3F30098 0E63593C
	v_mfma_f32_16x16x32_fp8_fp8 v[152:155], a[62:63], v[174:175], v[152:155]// 00000000377C: D3F30098 0E635D3E
	v_mfma_f32_16x16x32_fp8_fp8 v[156:159], a[48:49], v[176:177], v[156:159]// 000000003784: D3F3009C 0E736130
	v_mfma_f32_16x16x32_fp8_fp8 v[156:159], a[50:51], v[178:179], v[156:159]// 00000000378C: D3F3009C 0E736532
	buffer_load_dwordx4 a[120:123], v35, s[92:95], 0 offen offset:2048// 000000003794: E05C1800 80977823
	v_mfma_f32_16x16x32_fp8_fp8 v[156:159], a[52:53], v[180:181], v[156:159]// 00000000379C: D3F3009C 0E736934
	v_mfma_f32_16x16x32_fp8_fp8 v[156:159], a[54:55], v[182:183], v[156:159]// 0000000037A4: D3F3009C 0E736D36
	v_mfma_f32_16x16x32_fp8_fp8 v[156:159], a[56:57], v[184:185], v[156:159]// 0000000037AC: D3F3009C 0E737138
	v_mfma_f32_16x16x32_fp8_fp8 v[156:159], a[58:59], v[186:187], v[156:159]// 0000000037B4: D3F3009C 0E73753A
	buffer_load_dwordx4 a[124:127], v35, s[92:95], 0 offen offset:3072// 0000000037BC: E05C1C00 80977C23
	v_mfma_f32_16x16x32_fp8_fp8 v[156:159], a[60:61], v[188:189], v[156:159]// 0000000037C4: D3F3009C 0E73793C
	v_mfma_f32_16x16x32_fp8_fp8 v[156:159], a[62:63], v[190:191], v[156:159]// 0000000037CC: D3F3009C 0E737D3E
	s_waitcnt vmcnt(8)                                         // 0000000037D4: BF8C0F78
	s_barrier                                                  // 0000000037D8: BF8A0000
	v_mfma_f32_16x16x32_fp8_fp8 v[64:67], a[64:65], v[160:161], v[64:67]// 0000000037DC: D3F30040 0D034140
	v_mfma_f32_16x16x32_fp8_fp8 v[64:67], a[66:67], v[162:163], v[64:67]// 0000000037E4: D3F30040 0D034542
	buffer_load_dwordx4 a[0:3], v32, s[24:27], 0 offen         // 0000000037EC: E05C1000 80860020
	v_mfma_f32_16x16x32_fp8_fp8 v[64:67], a[68:69], v[164:165], v[64:67]// 0000000037F4: D3F30040 0D034944
	v_mfma_f32_16x16x32_fp8_fp8 v[64:67], a[70:71], v[166:167], v[64:67]// 0000000037FC: D3F30040 0D034D46
	v_mfma_f32_16x16x32_fp8_fp8 v[64:67], a[72:73], v[168:169], v[64:67]// 000000003804: D3F30040 0D035148
	v_mfma_f32_16x16x32_fp8_fp8 v[64:67], a[74:75], v[170:171], v[64:67]// 00000000380C: D3F30040 0D03554A
	buffer_load_dwordx4 a[4:7], v32, s[24:27], 0 offen offset:1024// 000000003814: E05C1400 80860420
	v_mfma_f32_16x16x32_fp8_fp8 v[64:67], a[76:77], v[172:173], v[64:67]// 00000000381C: D3F30040 0D03594C
	v_mfma_f32_16x16x32_fp8_fp8 v[64:67], a[78:79], v[174:175], v[64:67]// 000000003824: D3F30040 0D035D4E
	v_mfma_f32_16x16x32_fp8_fp8 v[68:71], a[64:65], v[176:177], v[68:71]// 00000000382C: D3F30044 0D136140
	v_mfma_f32_16x16x32_fp8_fp8 v[68:71], a[66:67], v[178:179], v[68:71]// 000000003834: D3F30044 0D136542
	buffer_load_dwordx4 a[8:11], v32, s[24:27], 0 offen offset:2048// 00000000383C: E05C1800 80860820
	v_mfma_f32_16x16x32_fp8_fp8 v[68:71], a[68:69], v[180:181], v[68:71]// 000000003844: D3F30044 0D136944
	v_mfma_f32_16x16x32_fp8_fp8 v[68:71], a[70:71], v[182:183], v[68:71]// 00000000384C: D3F30044 0D136D46
	v_mfma_f32_16x16x32_fp8_fp8 v[68:71], a[72:73], v[184:185], v[68:71]// 000000003854: D3F30044 0D137148
	v_mfma_f32_16x16x32_fp8_fp8 v[68:71], a[74:75], v[186:187], v[68:71]// 00000000385C: D3F30044 0D13754A
	buffer_load_dwordx4 a[12:15], v32, s[24:27], 0 offen offset:3072// 000000003864: E05C1C00 80860C20
	v_mfma_f32_16x16x32_fp8_fp8 v[68:71], a[76:77], v[188:189], v[68:71]// 00000000386C: D3F30044 0D13794C
	v_mfma_f32_16x16x32_fp8_fp8 v[68:71], a[78:79], v[190:191], v[68:71]// 000000003874: D3F30044 0D137D4E
	v_mfma_f32_16x16x32_fp8_fp8 v[72:75], a[80:81], v[160:161], v[72:75]// 00000000387C: D3F30048 0D234150
	v_mfma_f32_16x16x32_fp8_fp8 v[72:75], a[82:83], v[162:163], v[72:75]// 000000003884: D3F30048 0D234552
	buffer_load_dwordx4 a[16:19], v33, s[24:27], 0 offen       // 00000000388C: E05C1000 80861021
	v_mfma_f32_16x16x32_fp8_fp8 v[72:75], a[84:85], v[164:165], v[72:75]// 000000003894: D3F30048 0D234954
	v_mfma_f32_16x16x32_fp8_fp8 v[72:75], a[86:87], v[166:167], v[72:75]// 00000000389C: D3F30048 0D234D56
	v_mfma_f32_16x16x32_fp8_fp8 v[72:75], a[88:89], v[168:169], v[72:75]// 0000000038A4: D3F30048 0D235158
	v_mfma_f32_16x16x32_fp8_fp8 v[72:75], a[90:91], v[170:171], v[72:75]// 0000000038AC: D3F30048 0D23555A
	buffer_load_dwordx4 a[20:23], v33, s[24:27], 0 offen offset:1024// 0000000038B4: E05C1400 80861421
	v_mfma_f32_16x16x32_fp8_fp8 v[72:75], a[92:93], v[172:173], v[72:75]// 0000000038BC: D3F30048 0D23595C
	v_mfma_f32_16x16x32_fp8_fp8 v[72:75], a[94:95], v[174:175], v[72:75]// 0000000038C4: D3F30048 0D235D5E
	v_mfma_f32_16x16x32_fp8_fp8 v[76:79], a[80:81], v[176:177], v[76:79]// 0000000038CC: D3F3004C 0D336150
	v_mfma_f32_16x16x32_fp8_fp8 v[76:79], a[82:83], v[178:179], v[76:79]// 0000000038D4: D3F3004C 0D336552
	buffer_load_dwordx4 a[24:27], v33, s[24:27], 0 offen offset:2048// 0000000038DC: E05C1800 80861821
	v_mfma_f32_16x16x32_fp8_fp8 v[76:79], a[84:85], v[180:181], v[76:79]// 0000000038E4: D3F3004C 0D336954
	v_mfma_f32_16x16x32_fp8_fp8 v[76:79], a[86:87], v[182:183], v[76:79]// 0000000038EC: D3F3004C 0D336D56
	v_mfma_f32_16x16x32_fp8_fp8 v[76:79], a[88:89], v[184:185], v[76:79]// 0000000038F4: D3F3004C 0D337158
	v_mfma_f32_16x16x32_fp8_fp8 v[76:79], a[90:91], v[186:187], v[76:79]// 0000000038FC: D3F3004C 0D33755A
	buffer_load_dwordx4 a[28:31], v33, s[24:27], 0 offen offset:3072// 000000003904: E05C1C00 80861C21
	v_mfma_f32_16x16x32_fp8_fp8 v[76:79], a[92:93], v[188:189], v[76:79]// 00000000390C: D3F3004C 0D33795C
	v_mfma_f32_16x16x32_fp8_fp8 v[76:79], a[94:95], v[190:191], v[76:79]// 000000003914: D3F3004C 0D337D5E
	s_waitcnt vmcnt(12)                                        // 00000000391C: BF8C0F7C
	v_mfma_f32_16x16x32_fp8_fp8 v[80:83], a[96:97], v[160:161], v[80:83]// 000000003920: D3F30050 0D434160
	v_mfma_f32_16x16x32_fp8_fp8 v[80:83], a[98:99], v[162:163], v[80:83]// 000000003928: D3F30050 0D434562
	buffer_load_dwordx4 a[32:35], v34, s[24:27], 0 offen       // 000000003930: E05C1000 80862022
	v_mfma_f32_16x16x32_fp8_fp8 v[80:83], a[100:101], v[164:165], v[80:83]// 000000003938: D3F30050 0D434964
	v_mfma_f32_16x16x32_fp8_fp8 v[80:83], a[102:103], v[166:167], v[80:83]// 000000003940: D3F30050 0D434D66
	ds_read_b128 v[192:195], v2 offset:8320                    // 000000003948: D9FE2080 C0000002
	v_mfma_f32_16x16x32_fp8_fp8 v[80:83], a[104:105], v[168:169], v[80:83]// 000000003950: D3F30050 0D435168
	v_mfma_f32_16x16x32_fp8_fp8 v[80:83], a[106:107], v[170:171], v[80:83]// 000000003958: D3F30050 0D43556A
	buffer_load_dwordx4 a[36:39], v34, s[24:27], 0 offen offset:1024// 000000003960: E05C1400 80862422
	v_mfma_f32_16x16x32_fp8_fp8 v[80:83], a[108:109], v[172:173], v[80:83]// 000000003968: D3F30050 0D43596C
	v_mfma_f32_16x16x32_fp8_fp8 v[80:83], a[110:111], v[174:175], v[80:83]// 000000003970: D3F30050 0D435D6E
	ds_read_b128 v[196:199], v2 offset:8384                    // 000000003978: D9FE20C0 C4000002
	v_mfma_f32_16x16x32_fp8_fp8 v[84:87], a[96:97], v[176:177], v[84:87]// 000000003980: D3F30054 0D536160
	v_mfma_f32_16x16x32_fp8_fp8 v[84:87], a[98:99], v[178:179], v[84:87]// 000000003988: D3F30054 0D536562
	buffer_load_dwordx4 a[40:43], v34, s[24:27], 0 offen offset:2048// 000000003990: E05C1800 80862822
	v_mfma_f32_16x16x32_fp8_fp8 v[84:87], a[100:101], v[180:181], v[84:87]// 000000003998: D3F30054 0D536964
	v_mfma_f32_16x16x32_fp8_fp8 v[84:87], a[102:103], v[182:183], v[84:87]// 0000000039A0: D3F30054 0D536D66
	ds_read_b128 v[200:203], v2 offset:8448                    // 0000000039A8: D9FE2100 C8000002
	v_mfma_f32_16x16x32_fp8_fp8 v[84:87], a[104:105], v[184:185], v[84:87]// 0000000039B0: D3F30054 0D537168
	v_mfma_f32_16x16x32_fp8_fp8 v[84:87], a[106:107], v[186:187], v[84:87]// 0000000039B8: D3F30054 0D53756A
	buffer_load_dwordx4 a[44:47], v34, s[24:27], 0 offen offset:3072// 0000000039C0: E05C1C00 80862C22
	v_mfma_f32_16x16x32_fp8_fp8 v[84:87], a[108:109], v[188:189], v[84:87]// 0000000039C8: D3F30054 0D53796C
	v_mfma_f32_16x16x32_fp8_fp8 v[84:87], a[110:111], v[190:191], v[84:87]// 0000000039D0: D3F30054 0D537D6E
	ds_read_b128 v[204:207], v2 offset:8512                    // 0000000039D8: D9FE2140 CC000002
	s_waitcnt vmcnt(12)                                        // 0000000039E0: BF8C0F7C
	v_mfma_f32_16x16x32_fp8_fp8 v[88:91], a[112:113], v[160:161], v[88:91]// 0000000039E4: D3F30058 0D634170
	v_mfma_f32_16x16x32_fp8_fp8 v[88:91], a[114:115], v[162:163], v[88:91]// 0000000039EC: D3F30058 0D634572
	buffer_load_dwordx4 a[48:51], v35, s[24:27], 0 offen       // 0000000039F4: E05C1000 80863023
	v_mfma_f32_16x16x32_fp8_fp8 v[88:91], a[116:117], v[164:165], v[88:91]// 0000000039FC: D3F30058 0D634974
	v_mfma_f32_16x16x32_fp8_fp8 v[88:91], a[118:119], v[166:167], v[88:91]// 000000003A04: D3F30058 0D634D76
	ds_read_b128 v[208:211], v2 offset:9344                    // 000000003A0C: D9FE2480 D0000002
	v_mfma_f32_16x16x32_fp8_fp8 v[88:91], a[120:121], v[168:169], v[88:91]// 000000003A14: D3F30058 0D635178
	v_mfma_f32_16x16x32_fp8_fp8 v[88:91], a[122:123], v[170:171], v[88:91]// 000000003A1C: D3F30058 0D63557A
	buffer_load_dwordx4 a[52:55], v35, s[24:27], 0 offen offset:1024// 000000003A24: E05C1400 80863423
	v_mfma_f32_16x16x32_fp8_fp8 v[88:91], a[124:125], v[172:173], v[88:91]// 000000003A2C: D3F30058 0D63597C
	v_mfma_f32_16x16x32_fp8_fp8 v[88:91], a[126:127], v[174:175], v[88:91]// 000000003A34: D3F30058 0D635D7E
	ds_read_b128 v[212:215], v2 offset:9408                    // 000000003A3C: D9FE24C0 D4000002
	v_mfma_f32_16x16x32_fp8_fp8 v[92:95], a[112:113], v[176:177], v[92:95]// 000000003A44: D3F3005C 0D736170
	v_mfma_f32_16x16x32_fp8_fp8 v[92:95], a[114:115], v[178:179], v[92:95]// 000000003A4C: D3F3005C 0D736572
	buffer_load_dwordx4 a[56:59], v35, s[24:27], 0 offen offset:2048// 000000003A54: E05C1800 80863823
	v_mfma_f32_16x16x32_fp8_fp8 v[92:95], a[116:117], v[180:181], v[92:95]// 000000003A5C: D3F3005C 0D736974
	v_mfma_f32_16x16x32_fp8_fp8 v[92:95], a[118:119], v[182:183], v[92:95]// 000000003A64: D3F3005C 0D736D76
	ds_read_b128 v[216:219], v2 offset:9472                    // 000000003A6C: D9FE2500 D8000002
	v_mfma_f32_16x16x32_fp8_fp8 v[92:95], a[120:121], v[184:185], v[92:95]// 000000003A74: D3F3005C 0D737178
	v_mfma_f32_16x16x32_fp8_fp8 v[92:95], a[122:123], v[186:187], v[92:95]// 000000003A7C: D3F3005C 0D73757A
	buffer_load_dwordx4 a[60:63], v35, s[24:27], 0 offen offset:3072// 000000003A84: E05C1C00 80863C23
	v_mfma_f32_16x16x32_fp8_fp8 v[92:95], a[124:125], v[188:189], v[92:95]// 000000003A8C: D3F3005C 0D73797C
	v_mfma_f32_16x16x32_fp8_fp8 v[92:95], a[126:127], v[190:191], v[92:95]// 000000003A94: D3F3005C 0D737D7E
	ds_read_b128 v[220:223], v2 offset:9536                    // 000000003A9C: D9FE2540 DC000002
	s_add_u32 s60, 0x200, s80                                  // 000000003AA4: 803C50FF 00000200
	s_cmp_lt_u32 s60, s81                                      // 000000003AAC: BF0A513C
	s_cselect_b32 s57, s57, 0                                  // 000000003AB0: 85398039
	s_add_u32 s60, 0x200, s80                                  // 000000003AB4: 803C50FF 00000200
	s_cmp_lt_u32 s60, s81                                      // 000000003ABC: BF0A513C
	s_cselect_b32 s58, s58, 0                                  // 000000003AC0: 853A803A
	s_add_u32 s20, s57, s20                                    // 000000003AC4: 80141439
	s_addc_u32 s21, 0, s21                                     // 000000003AC8: 82151580
	s_add_u32 s24, s58, s24                                    // 000000003ACC: 8018183A
	s_addc_u32 s25, 0, s25                                     // 000000003AD0: 82191980
	s_add_u32 s92, s90, s92                                    // 000000003AD4: 805C5C5A
	s_addc_u32 s93, 0, s93                                     // 000000003AD8: 825D5D80
	s_addk_i32 s80, 0x100                                      // 000000003ADC: B7500100
	s_cmp_lt_i32 s80, s81                                      // 000000003AE0: BF045150
	s_cbranch_scc0 label_0583                                  // 000000003AE4: BF840189
	s_waitcnt vmcnt(8) lgkmcnt(0)                              // 000000003AE8: BF8C0078
	s_barrier                                                  // 000000003AEC: BF8A0000
	v_mfma_f32_16x16x32_fp8_fp8 v[128:131], a[0:1], v[192:193], v[128:131]// 000000003AF0: D3F30080 0E038100
	v_mfma_f32_16x16x32_fp8_fp8 v[128:131], a[2:3], v[194:195], v[128:131]// 000000003AF8: D3F30080 0E038502
	buffer_load_dwordx4 a[64:67], v32, s[92:95], 0 offen       // 000000003B00: E05C1000 80974020
	v_mfma_f32_16x16x32_fp8_fp8 v[128:131], a[4:5], v[196:197], v[128:131]// 000000003B08: D3F30080 0E038904
	v_mfma_f32_16x16x32_fp8_fp8 v[128:131], a[6:7], v[198:199], v[128:131]// 000000003B10: D3F30080 0E038D06
	buffer_load_dword v24, s[20:23], 0 offen lds               // 000000003B18: E0511000 80050018
	s_add_u32 m0, 0x100, s50                                   // 000000003B20: 807C32FF 00000100
	v_mfma_f32_16x16x32_fp8_fp8 v[128:131], a[8:9], v[200:201], v[128:131]// 000000003B28: D3F30080 0E039108
	v_mfma_f32_16x16x32_fp8_fp8 v[128:131], a[10:11], v[202:203], v[128:131]// 000000003B30: D3F30080 0E03950A
	buffer_load_dwordx4 a[68:71], v32, s[92:95], 0 offen offset:1024// 000000003B38: E05C1400 80974420
	v_mfma_f32_16x16x32_fp8_fp8 v[128:131], a[12:13], v[204:205], v[128:131]// 000000003B40: D3F30080 0E03990C
	v_mfma_f32_16x16x32_fp8_fp8 v[128:131], a[14:15], v[206:207], v[128:131]// 000000003B48: D3F30080 0E039D0E
	buffer_load_dword v25, s[20:23], 0 offen lds               // 000000003B50: E0511000 80050019
	s_add_u32 m0, 0x200, s50                                   // 000000003B58: 807C32FF 00000200
	v_mfma_f32_16x16x32_fp8_fp8 v[132:135], a[0:1], v[208:209], v[132:135]// 000000003B60: D3F30084 0E13A100
	v_mfma_f32_16x16x32_fp8_fp8 v[132:135], a[2:3], v[210:211], v[132:135]// 000000003B68: D3F30084 0E13A502
	buffer_load_dwordx4 a[72:75], v32, s[92:95], 0 offen offset:2048// 000000003B70: E05C1800 80974820
	v_mfma_f32_16x16x32_fp8_fp8 v[132:135], a[4:5], v[212:213], v[132:135]// 000000003B78: D3F30084 0E13A904
	v_mfma_f32_16x16x32_fp8_fp8 v[132:135], a[6:7], v[214:215], v[132:135]// 000000003B80: D3F30084 0E13AD06
	buffer_load_dword v26, s[20:23], 0 offen lds               // 000000003B88: E0511000 8005001A
	s_add_u32 m0, 0x300, s50                                   // 000000003B90: 807C32FF 00000300
	v_mfma_f32_16x16x32_fp8_fp8 v[132:135], a[8:9], v[216:217], v[132:135]// 000000003B98: D3F30084 0E13B108
	v_mfma_f32_16x16x32_fp8_fp8 v[132:135], a[10:11], v[218:219], v[132:135]// 000000003BA0: D3F30084 0E13B50A
	buffer_load_dwordx4 a[76:79], v32, s[92:95], 0 offen offset:3072// 000000003BA8: E05C1C00 80974C20
	v_mfma_f32_16x16x32_fp8_fp8 v[132:135], a[12:13], v[220:221], v[132:135]// 000000003BB0: D3F30084 0E13B90C
	v_mfma_f32_16x16x32_fp8_fp8 v[132:135], a[14:15], v[222:223], v[132:135]// 000000003BB8: D3F30084 0E13BD0E
	buffer_load_dword v27, s[20:23], 0 offen lds               // 000000003BC0: E0511000 8005001B
	s_add_u32 m0, 0x400, s50                                   // 000000003BC8: 807C32FF 00000400
	v_mfma_f32_16x16x32_fp8_fp8 v[136:139], a[16:17], v[192:193], v[136:139]// 000000003BD0: D3F30088 0E238110
	v_mfma_f32_16x16x32_fp8_fp8 v[136:139], a[18:19], v[194:195], v[136:139]// 000000003BD8: D3F30088 0E238512
	buffer_load_dwordx4 a[80:83], v33, s[92:95], 0 offen       // 000000003BE0: E05C1000 80975021
	v_mfma_f32_16x16x32_fp8_fp8 v[136:139], a[20:21], v[196:197], v[136:139]// 000000003BE8: D3F30088 0E238914
	v_mfma_f32_16x16x32_fp8_fp8 v[136:139], a[22:23], v[198:199], v[136:139]// 000000003BF0: D3F30088 0E238D16
	buffer_load_dword v28, s[20:23], 0 offen lds               // 000000003BF8: E0511000 8005001C
	s_add_u32 m0, 0x500, s50                                   // 000000003C00: 807C32FF 00000500
	v_mfma_f32_16x16x32_fp8_fp8 v[136:139], a[24:25], v[200:201], v[136:139]// 000000003C08: D3F30088 0E239118
	v_mfma_f32_16x16x32_fp8_fp8 v[136:139], a[26:27], v[202:203], v[136:139]// 000000003C10: D3F30088 0E23951A
	buffer_load_dwordx4 a[84:87], v33, s[92:95], 0 offen offset:1024// 000000003C18: E05C1400 80975421
	v_mfma_f32_16x16x32_fp8_fp8 v[136:139], a[28:29], v[204:205], v[136:139]// 000000003C20: D3F30088 0E23991C
	v_mfma_f32_16x16x32_fp8_fp8 v[136:139], a[30:31], v[206:207], v[136:139]// 000000003C28: D3F30088 0E239D1E
	buffer_load_dword v29, s[20:23], 0 offen lds               // 000000003C30: E0511000 8005001D
	s_add_u32 m0, 0x600, s50                                   // 000000003C38: 807C32FF 00000600
	v_mfma_f32_16x16x32_fp8_fp8 v[140:143], a[16:17], v[208:209], v[140:143]// 000000003C40: D3F3008C 0E33A110
	v_mfma_f32_16x16x32_fp8_fp8 v[140:143], a[18:19], v[210:211], v[140:143]// 000000003C48: D3F3008C 0E33A512
	buffer_load_dwordx4 a[88:91], v33, s[92:95], 0 offen offset:2048// 000000003C50: E05C1800 80975821
	v_mfma_f32_16x16x32_fp8_fp8 v[140:143], a[20:21], v[212:213], v[140:143]// 000000003C58: D3F3008C 0E33A914
	v_mfma_f32_16x16x32_fp8_fp8 v[140:143], a[22:23], v[214:215], v[140:143]// 000000003C60: D3F3008C 0E33AD16
	buffer_load_dword v30, s[20:23], 0 offen lds               // 000000003C68: E0511000 8005001E
	s_add_u32 m0, 0x700, s50                                   // 000000003C70: 807C32FF 00000700
	v_mfma_f32_16x16x32_fp8_fp8 v[140:143], a[24:25], v[216:217], v[140:143]// 000000003C78: D3F3008C 0E33B118
	v_mfma_f32_16x16x32_fp8_fp8 v[140:143], a[26:27], v[218:219], v[140:143]// 000000003C80: D3F3008C 0E33B51A
	buffer_load_dwordx4 a[92:95], v33, s[92:95], 0 offen offset:3072// 000000003C88: E05C1C00 80975C21
	v_mfma_f32_16x16x32_fp8_fp8 v[140:143], a[28:29], v[220:221], v[140:143]// 000000003C90: D3F3008C 0E33B91C
	v_mfma_f32_16x16x32_fp8_fp8 v[140:143], a[30:31], v[222:223], v[140:143]// 000000003C98: D3F3008C 0E33BD1E
	buffer_load_dword v31, s[20:23], 0 offen lds               // 000000003CA0: E0511000 8005001F
	s_add_u32 m0, 0, s51                                       // 000000003CA8: 807C3380
	s_waitcnt vmcnt(20)                                        // 000000003CAC: BF8C4F74
	v_mfma_f32_16x16x32_fp8_fp8 v[144:147], a[32:33], v[192:193], v[144:147]// 000000003CB0: D3F30090 0E438120
	v_mfma_f32_16x16x32_fp8_fp8 v[144:147], a[34:35], v[194:195], v[144:147]// 000000003CB8: D3F30090 0E438522
	buffer_load_dwordx4 a[96:99], v34, s[92:95], 0 offen       // 000000003CC0: E05C1000 80976022
	v_mfma_f32_16x16x32_fp8_fp8 v[144:147], a[36:37], v[196:197], v[144:147]// 000000003CC8: D3F30090 0E438924
	v_mfma_f32_16x16x32_fp8_fp8 v[144:147], a[38:39], v[198:199], v[144:147]// 000000003CD0: D3F30090 0E438D26
	v_mfma_f32_16x16x32_fp8_fp8 v[144:147], a[40:41], v[200:201], v[144:147]// 000000003CD8: D3F30090 0E439128
	v_mfma_f32_16x16x32_fp8_fp8 v[144:147], a[42:43], v[202:203], v[144:147]// 000000003CE0: D3F30090 0E43952A
	buffer_load_dwordx4 a[100:103], v34, s[92:95], 0 offen offset:1024// 000000003CE8: E05C1400 80976422
	v_mfma_f32_16x16x32_fp8_fp8 v[144:147], a[44:45], v[204:205], v[144:147]// 000000003CF0: D3F30090 0E43992C
	v_mfma_f32_16x16x32_fp8_fp8 v[144:147], a[46:47], v[206:207], v[144:147]// 000000003CF8: D3F30090 0E439D2E
	v_mfma_f32_16x16x32_fp8_fp8 v[148:151], a[32:33], v[208:209], v[148:151]// 000000003D00: D3F30094 0E53A120
	v_mfma_f32_16x16x32_fp8_fp8 v[148:151], a[34:35], v[210:211], v[148:151]// 000000003D08: D3F30094 0E53A522
	buffer_load_dwordx4 a[104:107], v34, s[92:95], 0 offen offset:2048// 000000003D10: E05C1800 80976822
	v_mfma_f32_16x16x32_fp8_fp8 v[148:151], a[36:37], v[212:213], v[148:151]// 000000003D18: D3F30094 0E53A924
	v_mfma_f32_16x16x32_fp8_fp8 v[148:151], a[38:39], v[214:215], v[148:151]// 000000003D20: D3F30094 0E53AD26
	v_mfma_f32_16x16x32_fp8_fp8 v[148:151], a[40:41], v[216:217], v[148:151]// 000000003D28: D3F30094 0E53B128
	v_mfma_f32_16x16x32_fp8_fp8 v[148:151], a[42:43], v[218:219], v[148:151]// 000000003D30: D3F30094 0E53B52A
	buffer_load_dwordx4 a[108:111], v34, s[92:95], 0 offen offset:3072// 000000003D38: E05C1C00 80976C22
	v_mfma_f32_16x16x32_fp8_fp8 v[148:151], a[44:45], v[220:221], v[148:151]// 000000003D40: D3F30094 0E53B92C
	v_mfma_f32_16x16x32_fp8_fp8 v[148:151], a[46:47], v[222:223], v[148:151]// 000000003D48: D3F30094 0E53BD2E
	s_waitcnt vmcnt(20)                                        // 000000003D50: BF8C4F74
	v_mfma_f32_16x16x32_fp8_fp8 v[152:155], a[48:49], v[192:193], v[152:155]// 000000003D54: D3F30098 0E638130
	v_mfma_f32_16x16x32_fp8_fp8 v[152:155], a[50:51], v[194:195], v[152:155]// 000000003D5C: D3F30098 0E638532
	buffer_load_dwordx4 a[112:115], v35, s[92:95], 0 offen     // 000000003D64: E05C1000 80977023
	v_mfma_f32_16x16x32_fp8_fp8 v[152:155], a[52:53], v[196:197], v[152:155]// 000000003D6C: D3F30098 0E638934
	v_mfma_f32_16x16x32_fp8_fp8 v[152:155], a[54:55], v[198:199], v[152:155]// 000000003D74: D3F30098 0E638D36
	v_mfma_f32_16x16x32_fp8_fp8 v[152:155], a[56:57], v[200:201], v[152:155]// 000000003D7C: D3F30098 0E639138
	v_mfma_f32_16x16x32_fp8_fp8 v[152:155], a[58:59], v[202:203], v[152:155]// 000000003D84: D3F30098 0E63953A
	buffer_load_dwordx4 a[116:119], v35, s[92:95], 0 offen offset:1024// 000000003D8C: E05C1400 80977423
	v_mfma_f32_16x16x32_fp8_fp8 v[152:155], a[60:61], v[204:205], v[152:155]// 000000003D94: D3F30098 0E63993C
	v_mfma_f32_16x16x32_fp8_fp8 v[152:155], a[62:63], v[206:207], v[152:155]// 000000003D9C: D3F30098 0E639D3E
	v_mfma_f32_16x16x32_fp8_fp8 v[156:159], a[48:49], v[208:209], v[156:159]// 000000003DA4: D3F3009C 0E73A130
	v_mfma_f32_16x16x32_fp8_fp8 v[156:159], a[50:51], v[210:211], v[156:159]// 000000003DAC: D3F3009C 0E73A532
	buffer_load_dwordx4 a[120:123], v35, s[92:95], 0 offen offset:2048// 000000003DB4: E05C1800 80977823
	v_mfma_f32_16x16x32_fp8_fp8 v[156:159], a[52:53], v[212:213], v[156:159]// 000000003DBC: D3F3009C 0E73A934
	v_mfma_f32_16x16x32_fp8_fp8 v[156:159], a[54:55], v[214:215], v[156:159]// 000000003DC4: D3F3009C 0E73AD36
	v_mfma_f32_16x16x32_fp8_fp8 v[156:159], a[56:57], v[216:217], v[156:159]// 000000003DCC: D3F3009C 0E73B138
	v_mfma_f32_16x16x32_fp8_fp8 v[156:159], a[58:59], v[218:219], v[156:159]// 000000003DD4: D3F3009C 0E73B53A
	buffer_load_dwordx4 a[124:127], v35, s[92:95], 0 offen offset:3072// 000000003DDC: E05C1C00 80977C23
	v_mfma_f32_16x16x32_fp8_fp8 v[156:159], a[60:61], v[220:221], v[156:159]// 000000003DE4: D3F3009C 0E73B93C
	v_mfma_f32_16x16x32_fp8_fp8 v[156:159], a[62:63], v[222:223], v[156:159]// 000000003DEC: D3F3009C 0E73BD3E
	s_waitcnt vmcnt(8)                                         // 000000003DF4: BF8C0F78
	s_barrier                                                  // 000000003DF8: BF8A0000
	v_mfma_f32_16x16x32_fp8_fp8 v[64:67], a[64:65], v[192:193], v[64:67]// 000000003DFC: D3F30040 0D038140
	v_mfma_f32_16x16x32_fp8_fp8 v[64:67], a[66:67], v[194:195], v[64:67]// 000000003E04: D3F30040 0D038542
	buffer_load_dwordx4 a[0:3], v32, s[24:27], 0 offen         // 000000003E0C: E05C1000 80860020
	v_mfma_f32_16x16x32_fp8_fp8 v[64:67], a[68:69], v[196:197], v[64:67]// 000000003E14: D3F30040 0D038944
	v_mfma_f32_16x16x32_fp8_fp8 v[64:67], a[70:71], v[198:199], v[64:67]// 000000003E1C: D3F30040 0D038D46
	v_mfma_f32_16x16x32_fp8_fp8 v[64:67], a[72:73], v[200:201], v[64:67]// 000000003E24: D3F30040 0D039148
	v_mfma_f32_16x16x32_fp8_fp8 v[64:67], a[74:75], v[202:203], v[64:67]// 000000003E2C: D3F30040 0D03954A
	buffer_load_dwordx4 a[4:7], v32, s[24:27], 0 offen offset:1024// 000000003E34: E05C1400 80860420
	v_mfma_f32_16x16x32_fp8_fp8 v[64:67], a[76:77], v[204:205], v[64:67]// 000000003E3C: D3F30040 0D03994C
	v_mfma_f32_16x16x32_fp8_fp8 v[64:67], a[78:79], v[206:207], v[64:67]// 000000003E44: D3F30040 0D039D4E
	v_mfma_f32_16x16x32_fp8_fp8 v[68:71], a[64:65], v[208:209], v[68:71]// 000000003E4C: D3F30044 0D13A140
	v_mfma_f32_16x16x32_fp8_fp8 v[68:71], a[66:67], v[210:211], v[68:71]// 000000003E54: D3F30044 0D13A542
	buffer_load_dwordx4 a[8:11], v32, s[24:27], 0 offen offset:2048// 000000003E5C: E05C1800 80860820
	v_mfma_f32_16x16x32_fp8_fp8 v[68:71], a[68:69], v[212:213], v[68:71]// 000000003E64: D3F30044 0D13A944
	v_mfma_f32_16x16x32_fp8_fp8 v[68:71], a[70:71], v[214:215], v[68:71]// 000000003E6C: D3F30044 0D13AD46
	v_mfma_f32_16x16x32_fp8_fp8 v[68:71], a[72:73], v[216:217], v[68:71]// 000000003E74: D3F30044 0D13B148
	v_mfma_f32_16x16x32_fp8_fp8 v[68:71], a[74:75], v[218:219], v[68:71]// 000000003E7C: D3F30044 0D13B54A
	buffer_load_dwordx4 a[12:15], v32, s[24:27], 0 offen offset:3072// 000000003E84: E05C1C00 80860C20
	v_mfma_f32_16x16x32_fp8_fp8 v[68:71], a[76:77], v[220:221], v[68:71]// 000000003E8C: D3F30044 0D13B94C
	v_mfma_f32_16x16x32_fp8_fp8 v[68:71], a[78:79], v[222:223], v[68:71]// 000000003E94: D3F30044 0D13BD4E
	v_mfma_f32_16x16x32_fp8_fp8 v[72:75], a[80:81], v[192:193], v[72:75]// 000000003E9C: D3F30048 0D238150
	v_mfma_f32_16x16x32_fp8_fp8 v[72:75], a[82:83], v[194:195], v[72:75]// 000000003EA4: D3F30048 0D238552
	buffer_load_dwordx4 a[16:19], v33, s[24:27], 0 offen       // 000000003EAC: E05C1000 80861021
	v_mfma_f32_16x16x32_fp8_fp8 v[72:75], a[84:85], v[196:197], v[72:75]// 000000003EB4: D3F30048 0D238954
	v_mfma_f32_16x16x32_fp8_fp8 v[72:75], a[86:87], v[198:199], v[72:75]// 000000003EBC: D3F30048 0D238D56
	v_mfma_f32_16x16x32_fp8_fp8 v[72:75], a[88:89], v[200:201], v[72:75]// 000000003EC4: D3F30048 0D239158
	v_mfma_f32_16x16x32_fp8_fp8 v[72:75], a[90:91], v[202:203], v[72:75]// 000000003ECC: D3F30048 0D23955A
	buffer_load_dwordx4 a[20:23], v33, s[24:27], 0 offen offset:1024// 000000003ED4: E05C1400 80861421
	v_mfma_f32_16x16x32_fp8_fp8 v[72:75], a[92:93], v[204:205], v[72:75]// 000000003EDC: D3F30048 0D23995C
	v_mfma_f32_16x16x32_fp8_fp8 v[72:75], a[94:95], v[206:207], v[72:75]// 000000003EE4: D3F30048 0D239D5E
	v_mfma_f32_16x16x32_fp8_fp8 v[76:79], a[80:81], v[208:209], v[76:79]// 000000003EEC: D3F3004C 0D33A150
	v_mfma_f32_16x16x32_fp8_fp8 v[76:79], a[82:83], v[210:211], v[76:79]// 000000003EF4: D3F3004C 0D33A552
	buffer_load_dwordx4 a[24:27], v33, s[24:27], 0 offen offset:2048// 000000003EFC: E05C1800 80861821
	v_mfma_f32_16x16x32_fp8_fp8 v[76:79], a[84:85], v[212:213], v[76:79]// 000000003F04: D3F3004C 0D33A954
	v_mfma_f32_16x16x32_fp8_fp8 v[76:79], a[86:87], v[214:215], v[76:79]// 000000003F0C: D3F3004C 0D33AD56
	v_mfma_f32_16x16x32_fp8_fp8 v[76:79], a[88:89], v[216:217], v[76:79]// 000000003F14: D3F3004C 0D33B158
	v_mfma_f32_16x16x32_fp8_fp8 v[76:79], a[90:91], v[218:219], v[76:79]// 000000003F1C: D3F3004C 0D33B55A
	buffer_load_dwordx4 a[28:31], v33, s[24:27], 0 offen offset:3072// 000000003F24: E05C1C00 80861C21
	v_mfma_f32_16x16x32_fp8_fp8 v[76:79], a[92:93], v[220:221], v[76:79]// 000000003F2C: D3F3004C 0D33B95C
	v_mfma_f32_16x16x32_fp8_fp8 v[76:79], a[94:95], v[222:223], v[76:79]// 000000003F34: D3F3004C 0D33BD5E
	s_waitcnt vmcnt(12)                                        // 000000003F3C: BF8C0F7C
	v_mfma_f32_16x16x32_fp8_fp8 v[80:83], a[96:97], v[192:193], v[80:83]// 000000003F40: D3F30050 0D438160
	v_mfma_f32_16x16x32_fp8_fp8 v[80:83], a[98:99], v[194:195], v[80:83]// 000000003F48: D3F30050 0D438562
	buffer_load_dwordx4 a[32:35], v34, s[24:27], 0 offen       // 000000003F50: E05C1000 80862022
	v_mfma_f32_16x16x32_fp8_fp8 v[80:83], a[100:101], v[196:197], v[80:83]// 000000003F58: D3F30050 0D438964
	v_mfma_f32_16x16x32_fp8_fp8 v[80:83], a[102:103], v[198:199], v[80:83]// 000000003F60: D3F30050 0D438D66
	ds_read_b128 v[160:163], v2                                // 000000003F68: D9FE0000 A0000002
	v_mfma_f32_16x16x32_fp8_fp8 v[80:83], a[104:105], v[200:201], v[80:83]// 000000003F70: D3F30050 0D439168
	v_mfma_f32_16x16x32_fp8_fp8 v[80:83], a[106:107], v[202:203], v[80:83]// 000000003F78: D3F30050 0D43956A
	buffer_load_dwordx4 a[36:39], v34, s[24:27], 0 offen offset:1024// 000000003F80: E05C1400 80862422
	v_mfma_f32_16x16x32_fp8_fp8 v[80:83], a[108:109], v[204:205], v[80:83]// 000000003F88: D3F30050 0D43996C
	v_mfma_f32_16x16x32_fp8_fp8 v[80:83], a[110:111], v[206:207], v[80:83]// 000000003F90: D3F30050 0D439D6E
	ds_read_b128 v[164:167], v2 offset:64                      // 000000003F98: D9FE0040 A4000002
	v_mfma_f32_16x16x32_fp8_fp8 v[84:87], a[96:97], v[208:209], v[84:87]// 000000003FA0: D3F30054 0D53A160
	v_mfma_f32_16x16x32_fp8_fp8 v[84:87], a[98:99], v[210:211], v[84:87]// 000000003FA8: D3F30054 0D53A562
	buffer_load_dwordx4 a[40:43], v34, s[24:27], 0 offen offset:2048// 000000003FB0: E05C1800 80862822
	v_mfma_f32_16x16x32_fp8_fp8 v[84:87], a[100:101], v[212:213], v[84:87]// 000000003FB8: D3F30054 0D53A964
	v_mfma_f32_16x16x32_fp8_fp8 v[84:87], a[102:103], v[214:215], v[84:87]// 000000003FC0: D3F30054 0D53AD66
	ds_read_b128 v[168:171], v2 offset:128                     // 000000003FC8: D9FE0080 A8000002
	v_mfma_f32_16x16x32_fp8_fp8 v[84:87], a[104:105], v[216:217], v[84:87]// 000000003FD0: D3F30054 0D53B168
	v_mfma_f32_16x16x32_fp8_fp8 v[84:87], a[106:107], v[218:219], v[84:87]// 000000003FD8: D3F30054 0D53B56A
	buffer_load_dwordx4 a[44:47], v34, s[24:27], 0 offen offset:3072// 000000003FE0: E05C1C00 80862C22
	v_mfma_f32_16x16x32_fp8_fp8 v[84:87], a[108:109], v[220:221], v[84:87]// 000000003FE8: D3F30054 0D53B96C
	v_mfma_f32_16x16x32_fp8_fp8 v[84:87], a[110:111], v[222:223], v[84:87]// 000000003FF0: D3F30054 0D53BD6E
	ds_read_b128 v[172:175], v2 offset:192                     // 000000003FF8: D9FE00C0 AC000002
	s_waitcnt vmcnt(12)                                        // 000000004000: BF8C0F7C
	v_mfma_f32_16x16x32_fp8_fp8 v[88:91], a[112:113], v[192:193], v[88:91]// 000000004004: D3F30058 0D638170
	v_mfma_f32_16x16x32_fp8_fp8 v[88:91], a[114:115], v[194:195], v[88:91]// 00000000400C: D3F30058 0D638572
	buffer_load_dwordx4 a[48:51], v35, s[24:27], 0 offen       // 000000004014: E05C1000 80863023
	v_mfma_f32_16x16x32_fp8_fp8 v[88:91], a[116:117], v[196:197], v[88:91]// 00000000401C: D3F30058 0D638974
	v_mfma_f32_16x16x32_fp8_fp8 v[88:91], a[118:119], v[198:199], v[88:91]// 000000004024: D3F30058 0D638D76
	ds_read_b128 v[176:179], v2 offset:1024                    // 00000000402C: D9FE0400 B0000002
	v_mfma_f32_16x16x32_fp8_fp8 v[88:91], a[120:121], v[200:201], v[88:91]// 000000004034: D3F30058 0D639178
	v_mfma_f32_16x16x32_fp8_fp8 v[88:91], a[122:123], v[202:203], v[88:91]// 00000000403C: D3F30058 0D63957A
	buffer_load_dwordx4 a[52:55], v35, s[24:27], 0 offen offset:1024// 000000004044: E05C1400 80863423
	v_mfma_f32_16x16x32_fp8_fp8 v[88:91], a[124:125], v[204:205], v[88:91]// 00000000404C: D3F30058 0D63997C
	v_mfma_f32_16x16x32_fp8_fp8 v[88:91], a[126:127], v[206:207], v[88:91]// 000000004054: D3F30058 0D639D7E
	ds_read_b128 v[180:183], v2 offset:1088                    // 00000000405C: D9FE0440 B4000002
	v_mfma_f32_16x16x32_fp8_fp8 v[92:95], a[112:113], v[208:209], v[92:95]// 000000004064: D3F3005C 0D73A170
	v_mfma_f32_16x16x32_fp8_fp8 v[92:95], a[114:115], v[210:211], v[92:95]// 00000000406C: D3F3005C 0D73A572
	buffer_load_dwordx4 a[56:59], v35, s[24:27], 0 offen offset:2048// 000000004074: E05C1800 80863823
	v_mfma_f32_16x16x32_fp8_fp8 v[92:95], a[116:117], v[212:213], v[92:95]// 00000000407C: D3F3005C 0D73A974
	v_mfma_f32_16x16x32_fp8_fp8 v[92:95], a[118:119], v[214:215], v[92:95]// 000000004084: D3F3005C 0D73AD76
	ds_read_b128 v[184:187], v2 offset:1152                    // 00000000408C: D9FE0480 B8000002
	v_mfma_f32_16x16x32_fp8_fp8 v[92:95], a[120:121], v[216:217], v[92:95]// 000000004094: D3F3005C 0D73B178
	v_mfma_f32_16x16x32_fp8_fp8 v[92:95], a[122:123], v[218:219], v[92:95]// 00000000409C: D3F3005C 0D73B57A
	buffer_load_dwordx4 a[60:63], v35, s[24:27], 0 offen offset:3072// 0000000040A4: E05C1C00 80863C23
	v_mfma_f32_16x16x32_fp8_fp8 v[92:95], a[124:125], v[220:221], v[92:95]// 0000000040AC: D3F3005C 0D73B97C
	v_mfma_f32_16x16x32_fp8_fp8 v[92:95], a[126:127], v[222:223], v[92:95]// 0000000040B4: D3F3005C 0D73BD7E
	ds_read_b128 v[188:191], v2 offset:1216                    // 0000000040BC: D9FE04C0 BC000002
	s_add_u32 s60, 0x200, s80                                  // 0000000040C4: 803C50FF 00000200
	s_cmp_lt_u32 s60, s81                                      // 0000000040CC: BF0A513C
	s_cselect_b32 s57, s57, 0                                  // 0000000040D0: 85398039
	s_add_u32 s60, 0x200, s80                                  // 0000000040D4: 803C50FF 00000200
	s_cmp_lt_u32 s60, s81                                      // 0000000040DC: BF0A513C
	s_cselect_b32 s58, s58, 0                                  // 0000000040E0: 853A803A
	s_add_u32 s20, s57, s20                                    // 0000000040E4: 80141439
	s_addc_u32 s21, 0, s21                                     // 0000000040E8: 82151580
	s_add_u32 s24, s58, s24                                    // 0000000040EC: 8018183A
	s_addc_u32 s25, 0, s25                                     // 0000000040F0: 82191980
	s_add_u32 s92, s90, s92                                    // 0000000040F4: 805C5C5A
	s_addc_u32 s93, 0, s93                                     // 0000000040F8: 825D5D80
	s_addk_i32 s80, 0x100                                      // 0000000040FC: B7500100
	s_cmp_lt_i32 s80, s81                                      // 000000004100: BF045150
	s_cbranch_scc0 label_0583                                  // 000000004104: BF840001
	s_branch label_0272                                        // 000000004108: BF82FCEF

000000000000410c <label_0583>:
	s_mov_b32 s36, -1                                          // 00000000410C: BEA400C1
	s_mov_b32 s37, -1                                          // 000000004110: BEA500C1
	s_mov_b64 s[60:61], 0                                      // 000000004114: BEBC0180
	s_cmp_lt_u32 s82, s66                                      // 000000004118: BF0A4252
	s_cselect_b64 s[20:21], s[36:37], s[60:61]                 // 00000000411C: 85943C24
	s_cmp_lt_u32 s83, s66                                      // 000000004120: BF0A4253
	s_cselect_b64 s[22:23], s[36:37], s[60:61]                 // 000000004124: 85963C24
	s_cmp_lt_u32 s84, s66                                      // 000000004128: BF0A4254
	s_cselect_b64 s[24:25], s[36:37], s[60:61]                 // 00000000412C: 85983C24
	s_cmp_lt_u32 s85, s66                                      // 000000004130: BF0A4255
	s_cselect_b64 s[26:27], s[36:37], s[60:61]                 // 000000004134: 859A3C24
	s_cmp_lt_u32 s86, s66                                      // 000000004138: BF0A4256
	s_cselect_b64 s[28:29], s[36:37], s[60:61]                 // 00000000413C: 859C3C24
	s_cmp_lt_u32 s87, s66                                      // 000000004140: BF0A4257
	s_cselect_b64 s[30:31], s[36:37], s[60:61]                 // 000000004144: 859E3C24
	s_cmp_lt_u32 s88, s66                                      // 000000004148: BF0A4258
	s_cselect_b64 s[32:33], s[36:37], s[60:61]                 // 00000000414C: 85A03C24
	s_cmp_lt_u32 s89, s66                                      // 000000004150: BF0A4259
	s_cselect_b64 s[34:35], s[36:37], s[60:61]                 // 000000004154: 85A23C24
	v_mul_f32_e32 v128, v13, v128                              // 000000004158: 0B01010D
	v_mul_f32_e32 v129, v13, v129                              // 00000000415C: 0B03030D
	v_mul_f32_e32 v130, v13, v130                              // 000000004160: 0B05050D
	v_mul_f32_e32 v131, v13, v131                              // 000000004164: 0B07070D
	v_mul_f32_dpp v128, v15, v128 row_newbcast:0 row_mask:0xf bank_mask:0xf// 000000004168: 0B0100FA FF01500F
	v_mul_f32_dpp v129, v15, v129 row_newbcast:1 row_mask:0xf bank_mask:0xf// 000000004170: 0B0302FA FF01510F
	v_mul_f32_dpp v130, v15, v130 row_newbcast:2 row_mask:0xf bank_mask:0xf// 000000004178: 0B0504FA FF01520F
	v_mul_f32_dpp v131, v15, v131 row_newbcast:3 row_mask:0xf bank_mask:0xf// 000000004180: 0B0706FA FF01530F
	v_mul_f32_e32 v132, v14, v132                              // 000000004188: 0B09090E
	v_mul_f32_e32 v133, v14, v133                              // 00000000418C: 0B0B0B0E
	v_mul_f32_e32 v134, v14, v134                              // 000000004190: 0B0D0D0E
	v_mul_f32_e32 v135, v14, v135                              // 000000004194: 0B0F0F0E
	v_mul_f32_dpp v132, v15, v132 row_newbcast:0 row_mask:0xf bank_mask:0xf// 000000004198: 0B0908FA FF01500F
	v_mul_f32_dpp v133, v15, v133 row_newbcast:1 row_mask:0xf bank_mask:0xf// 0000000041A0: 0B0B0AFA FF01510F
	v_mul_f32_dpp v134, v15, v134 row_newbcast:2 row_mask:0xf bank_mask:0xf// 0000000041A8: 0B0D0CFA FF01520F
	v_mul_f32_dpp v135, v15, v135 row_newbcast:3 row_mask:0xf bank_mask:0xf// 0000000041B0: 0B0F0EFA FF01530F
	v_mul_f32_e32 v136, v13, v136                              // 0000000041B8: 0B11110D
	v_mul_f32_e32 v137, v13, v137                              // 0000000041BC: 0B13130D
	v_mul_f32_e32 v138, v13, v138                              // 0000000041C0: 0B15150D
	v_mul_f32_e32 v139, v13, v139                              // 0000000041C4: 0B17170D
	v_mul_f32_dpp v136, v15, v136 row_newbcast:4 row_mask:0xf bank_mask:0xf// 0000000041C8: 0B1110FA FF01540F
	v_mul_f32_dpp v137, v15, v137 row_newbcast:5 row_mask:0xf bank_mask:0xf// 0000000041D0: 0B1312FA FF01550F
	v_mul_f32_dpp v138, v15, v138 row_newbcast:6 row_mask:0xf bank_mask:0xf// 0000000041D8: 0B1514FA FF01560F
	v_mul_f32_dpp v139, v15, v139 row_newbcast:7 row_mask:0xf bank_mask:0xf// 0000000041E0: 0B1716FA FF01570F
	v_mul_f32_e32 v140, v14, v140                              // 0000000041E8: 0B19190E
	v_mul_f32_e32 v141, v14, v141                              // 0000000041EC: 0B1B1B0E
	v_mul_f32_e32 v142, v14, v142                              // 0000000041F0: 0B1D1D0E
	v_mul_f32_e32 v143, v14, v143                              // 0000000041F4: 0B1F1F0E
	v_mul_f32_dpp v140, v15, v140 row_newbcast:4 row_mask:0xf bank_mask:0xf// 0000000041F8: 0B1918FA FF01540F
	v_mul_f32_dpp v141, v15, v141 row_newbcast:5 row_mask:0xf bank_mask:0xf// 000000004200: 0B1B1AFA FF01550F
	v_mul_f32_dpp v142, v15, v142 row_newbcast:6 row_mask:0xf bank_mask:0xf// 000000004208: 0B1D1CFA FF01560F
	v_mul_f32_dpp v143, v15, v143 row_newbcast:7 row_mask:0xf bank_mask:0xf// 000000004210: 0B1F1EFA FF01570F
	v_mul_f32_e32 v144, v13, v144                              // 000000004218: 0B21210D
	v_mul_f32_e32 v145, v13, v145                              // 00000000421C: 0B23230D
	v_mul_f32_e32 v146, v13, v146                              // 000000004220: 0B25250D
	v_mul_f32_e32 v147, v13, v147                              // 000000004224: 0B27270D
	v_mul_f32_dpp v144, v15, v144 row_newbcast:8 row_mask:0xf bank_mask:0xf// 000000004228: 0B2120FA FF01580F
	v_mul_f32_dpp v145, v15, v145 row_newbcast:9 row_mask:0xf bank_mask:0xf// 000000004230: 0B2322FA FF01590F
	v_mul_f32_dpp v146, v15, v146 row_newbcast:10 row_mask:0xf bank_mask:0xf// 000000004238: 0B2524FA FF015A0F
	v_mul_f32_dpp v147, v15, v147 row_newbcast:11 row_mask:0xf bank_mask:0xf// 000000004240: 0B2726FA FF015B0F
	v_mul_f32_e32 v148, v14, v148                              // 000000004248: 0B29290E
	v_mul_f32_e32 v149, v14, v149                              // 00000000424C: 0B2B2B0E
	v_mul_f32_e32 v150, v14, v150                              // 000000004250: 0B2D2D0E
	v_mul_f32_e32 v151, v14, v151                              // 000000004254: 0B2F2F0E
	v_mul_f32_dpp v148, v15, v148 row_newbcast:8 row_mask:0xf bank_mask:0xf// 000000004258: 0B2928FA FF01580F
	v_mul_f32_dpp v149, v15, v149 row_newbcast:9 row_mask:0xf bank_mask:0xf// 000000004260: 0B2B2AFA FF01590F
	v_mul_f32_dpp v150, v15, v150 row_newbcast:10 row_mask:0xf bank_mask:0xf// 000000004268: 0B2D2CFA FF015A0F
	v_mul_f32_dpp v151, v15, v151 row_newbcast:11 row_mask:0xf bank_mask:0xf// 000000004270: 0B2F2EFA FF015B0F
	v_mul_f32_e32 v152, v13, v152                              // 000000004278: 0B31310D
	v_mul_f32_e32 v153, v13, v153                              // 00000000427C: 0B33330D
	v_mul_f32_e32 v154, v13, v154                              // 000000004280: 0B35350D
	v_mul_f32_e32 v155, v13, v155                              // 000000004284: 0B37370D
	v_mul_f32_dpp v152, v15, v152 row_newbcast:12 row_mask:0xf bank_mask:0xf// 000000004288: 0B3130FA FF015C0F
	v_mul_f32_dpp v153, v15, v153 row_newbcast:13 row_mask:0xf bank_mask:0xf// 000000004290: 0B3332FA FF015D0F
	v_mul_f32_dpp v154, v15, v154 row_newbcast:14 row_mask:0xf bank_mask:0xf// 000000004298: 0B3534FA FF015E0F
	v_mul_f32_dpp v155, v15, v155 row_newbcast:15 row_mask:0xf bank_mask:0xf// 0000000042A0: 0B3736FA FF015F0F
	v_mul_f32_e32 v156, v14, v156                              // 0000000042A8: 0B39390E
	v_mul_f32_e32 v157, v14, v157                              // 0000000042AC: 0B3B3B0E
	v_mul_f32_e32 v158, v14, v158                              // 0000000042B0: 0B3D3D0E
	v_mul_f32_e32 v159, v14, v159                              // 0000000042B4: 0B3F3F0E
	v_mul_f32_dpp v156, v15, v156 row_newbcast:12 row_mask:0xf bank_mask:0xf// 0000000042B8: 0B3938FA FF015C0F
	v_mul_f32_dpp v157, v15, v157 row_newbcast:13 row_mask:0xf bank_mask:0xf// 0000000042C0: 0B3B3AFA FF015D0F
	v_mul_f32_dpp v158, v15, v158 row_newbcast:14 row_mask:0xf bank_mask:0xf// 0000000042C8: 0B3D3CFA FF015E0F
	v_mul_f32_dpp v159, v15, v159 row_newbcast:15 row_mask:0xf bank_mask:0xf// 0000000042D0: 0B3F3EFA FF015F0F
	v_mul_f32_e32 v64, v13, v64                                // 0000000042D8: 0A80810D
	v_mul_f32_e32 v65, v13, v65                                // 0000000042DC: 0A82830D
	v_mul_f32_e32 v66, v13, v66                                // 0000000042E0: 0A84850D
	v_mul_f32_e32 v67, v13, v67                                // 0000000042E4: 0A86870D
	v_mul_f32_dpp v64, v44, v64 row_newbcast:0 row_mask:0xf bank_mask:0xf// 0000000042E8: 0A8080FA FF01502C
	v_mul_f32_dpp v65, v44, v65 row_newbcast:1 row_mask:0xf bank_mask:0xf// 0000000042F0: 0A8282FA FF01512C
	v_mul_f32_dpp v66, v44, v66 row_newbcast:2 row_mask:0xf bank_mask:0xf// 0000000042F8: 0A8484FA FF01522C
	v_mul_f32_dpp v67, v44, v67 row_newbcast:3 row_mask:0xf bank_mask:0xf// 000000004300: 0A8686FA FF01532C
	v_mul_f32_e32 v68, v14, v68                                // 000000004308: 0A88890E
	v_mul_f32_e32 v69, v14, v69                                // 00000000430C: 0A8A8B0E
	v_mul_f32_e32 v70, v14, v70                                // 000000004310: 0A8C8D0E
	v_mul_f32_e32 v71, v14, v71                                // 000000004314: 0A8E8F0E
	v_mul_f32_dpp v68, v44, v68 row_newbcast:0 row_mask:0xf bank_mask:0xf// 000000004318: 0A8888FA FF01502C
	v_mul_f32_dpp v69, v44, v69 row_newbcast:1 row_mask:0xf bank_mask:0xf// 000000004320: 0A8A8AFA FF01512C
	v_mul_f32_dpp v70, v44, v70 row_newbcast:2 row_mask:0xf bank_mask:0xf// 000000004328: 0A8C8CFA FF01522C
	v_mul_f32_dpp v71, v44, v71 row_newbcast:3 row_mask:0xf bank_mask:0xf// 000000004330: 0A8E8EFA FF01532C
	v_mul_f32_e32 v72, v13, v72                                // 000000004338: 0A90910D
	v_mul_f32_e32 v73, v13, v73                                // 00000000433C: 0A92930D
	v_mul_f32_e32 v74, v13, v74                                // 000000004340: 0A94950D
	v_mul_f32_e32 v75, v13, v75                                // 000000004344: 0A96970D
	v_mul_f32_dpp v72, v44, v72 row_newbcast:4 row_mask:0xf bank_mask:0xf// 000000004348: 0A9090FA FF01542C
	v_mul_f32_dpp v73, v44, v73 row_newbcast:5 row_mask:0xf bank_mask:0xf// 000000004350: 0A9292FA FF01552C
	v_mul_f32_dpp v74, v44, v74 row_newbcast:6 row_mask:0xf bank_mask:0xf// 000000004358: 0A9494FA FF01562C
	v_mul_f32_dpp v75, v44, v75 row_newbcast:7 row_mask:0xf bank_mask:0xf// 000000004360: 0A9696FA FF01572C
	v_mul_f32_e32 v76, v14, v76                                // 000000004368: 0A98990E
	v_mul_f32_e32 v77, v14, v77                                // 00000000436C: 0A9A9B0E
	v_mul_f32_e32 v78, v14, v78                                // 000000004370: 0A9C9D0E
	v_mul_f32_e32 v79, v14, v79                                // 000000004374: 0A9E9F0E
	v_mul_f32_dpp v76, v44, v76 row_newbcast:4 row_mask:0xf bank_mask:0xf// 000000004378: 0A9898FA FF01542C
	v_mul_f32_dpp v77, v44, v77 row_newbcast:5 row_mask:0xf bank_mask:0xf// 000000004380: 0A9A9AFA FF01552C
	v_mul_f32_dpp v78, v44, v78 row_newbcast:6 row_mask:0xf bank_mask:0xf// 000000004388: 0A9C9CFA FF01562C
	v_mul_f32_dpp v79, v44, v79 row_newbcast:7 row_mask:0xf bank_mask:0xf// 000000004390: 0A9E9EFA FF01572C
	v_mul_f32_e32 v80, v13, v80                                // 000000004398: 0AA0A10D
	v_mul_f32_e32 v81, v13, v81                                // 00000000439C: 0AA2A30D
	v_mul_f32_e32 v82, v13, v82                                // 0000000043A0: 0AA4A50D
	v_mul_f32_e32 v83, v13, v83                                // 0000000043A4: 0AA6A70D
	v_mul_f32_dpp v80, v44, v80 row_newbcast:8 row_mask:0xf bank_mask:0xf// 0000000043A8: 0AA0A0FA FF01582C
	v_mul_f32_dpp v81, v44, v81 row_newbcast:9 row_mask:0xf bank_mask:0xf// 0000000043B0: 0AA2A2FA FF01592C
	v_mul_f32_dpp v82, v44, v82 row_newbcast:10 row_mask:0xf bank_mask:0xf// 0000000043B8: 0AA4A4FA FF015A2C
	v_mul_f32_dpp v83, v44, v83 row_newbcast:11 row_mask:0xf bank_mask:0xf// 0000000043C0: 0AA6A6FA FF015B2C
	v_mul_f32_e32 v84, v14, v84                                // 0000000043C8: 0AA8A90E
	v_mul_f32_e32 v85, v14, v85                                // 0000000043CC: 0AAAAB0E
	v_mul_f32_e32 v86, v14, v86                                // 0000000043D0: 0AACAD0E
	v_mul_f32_e32 v87, v14, v87                                // 0000000043D4: 0AAEAF0E
	v_mul_f32_dpp v84, v44, v84 row_newbcast:8 row_mask:0xf bank_mask:0xf// 0000000043D8: 0AA8A8FA FF01582C
	v_mul_f32_dpp v85, v44, v85 row_newbcast:9 row_mask:0xf bank_mask:0xf// 0000000043E0: 0AAAAAFA FF01592C
	v_mul_f32_dpp v86, v44, v86 row_newbcast:10 row_mask:0xf bank_mask:0xf// 0000000043E8: 0AACACFA FF015A2C
	v_mul_f32_dpp v87, v44, v87 row_newbcast:11 row_mask:0xf bank_mask:0xf// 0000000043F0: 0AAEAEFA FF015B2C
	v_mul_f32_e32 v88, v13, v88                                // 0000000043F8: 0AB0B10D
	v_mul_f32_e32 v89, v13, v89                                // 0000000043FC: 0AB2B30D
	v_mul_f32_e32 v90, v13, v90                                // 000000004400: 0AB4B50D
	v_mul_f32_e32 v91, v13, v91                                // 000000004404: 0AB6B70D
	v_mul_f32_dpp v88, v44, v88 row_newbcast:12 row_mask:0xf bank_mask:0xf// 000000004408: 0AB0B0FA FF015C2C
	v_mul_f32_dpp v89, v44, v89 row_newbcast:13 row_mask:0xf bank_mask:0xf// 000000004410: 0AB2B2FA FF015D2C
	v_mul_f32_dpp v90, v44, v90 row_newbcast:14 row_mask:0xf bank_mask:0xf// 000000004418: 0AB4B4FA FF015E2C
	v_mul_f32_dpp v91, v44, v91 row_newbcast:15 row_mask:0xf bank_mask:0xf// 000000004420: 0AB6B6FA FF015F2C
	v_mul_f32_e32 v92, v14, v92                                // 000000004428: 0AB8B90E
	v_mul_f32_e32 v93, v14, v93                                // 00000000442C: 0ABABB0E
	v_mul_f32_e32 v94, v14, v94                                // 000000004430: 0ABCBD0E
	v_mul_f32_e32 v95, v14, v95                                // 000000004434: 0ABEBF0E
	v_mul_f32_dpp v92, v44, v92 row_newbcast:12 row_mask:0xf bank_mask:0xf// 000000004438: 0AB8B8FA FF015C2C
	v_mul_f32_dpp v93, v44, v93 row_newbcast:13 row_mask:0xf bank_mask:0xf// 000000004440: 0ABABAFA FF015D2C
	v_mul_f32_dpp v94, v44, v94 row_newbcast:14 row_mask:0xf bank_mask:0xf// 000000004448: 0ABCBCFA FF015E2C
	v_mul_f32_dpp v95, v44, v95 row_newbcast:15 row_mask:0xf bank_mask:0xf// 000000004450: 0ABEBEFA FF015F2C
	s_waitcnt vmcnt(12)                                        // 000000004458: BF8C0F7C
	buffer_load_dwordx4 a[0:3], v36, s[12:15], 0 offen         // 00000000445C: E05C1000 80830024
	v_mul_f32_e64 v46, -v128, s6                               // 000000004464: D105002E 20000D80
	v_mul_f32_e64 v47, -v129, s6                               // 00000000446C: D105002F 20000D81
	v_mul_f32_e64 v48, -v130, s6                               // 000000004474: D1050030 20000D82
	v_mul_f32_e64 v49, -v131, s6                               // 00000000447C: D1050031 20000D83
	v_exp_f32_e32 v46, v46                                     // 000000004484: 7E5C412E
	v_exp_f32_e32 v47, v47                                     // 000000004488: 7E5E412F
	v_exp_f32_e32 v48, v48                                     // 00000000448C: 7E604130
	v_exp_f32_e32 v49, v49                                     // 000000004490: 7E624131
	buffer_load_dwordx4 a[4:7], v37, s[12:15], 0 offen         // 000000004494: E05C1000 80830425
	v_add_f32_e64 v46, v46, 1.0                                // 00000000449C: D101002E 0001E52E
	v_add_f32_e64 v47, v47, 1.0                                // 0000000044A4: D101002F 0001E52F
	v_add_f32_e64 v48, v48, 1.0                                // 0000000044AC: D1010030 0001E530
	v_add_f32_e64 v49, v49, 1.0                                // 0000000044B4: D1010031 0001E531
	v_rcp_f32_e32 v46, v46                                     // 0000000044BC: 7E5C452E
	v_rcp_f32_e32 v47, v47                                     // 0000000044C0: 7E5E452F
	v_rcp_f32_e32 v48, v48                                     // 0000000044C4: 7E604530
	v_rcp_f32_e32 v49, v49                                     // 0000000044C8: 7E624531
	v_mul_f32_e32 v128, v128, v46                              // 0000000044CC: 0B005D80
	v_mul_f32_e32 v129, v129, v47                              // 0000000044D0: 0B025F81
	v_mul_f32_e32 v130, v130, v48                              // 0000000044D4: 0B046182
	v_mul_f32_e32 v131, v131, v49                              // 0000000044D8: 0B066383
	v_mul_f32_e32 v128, v128, v64                              // 0000000044DC: 0B008180
	v_mul_f32_e32 v129, v129, v65                              // 0000000044E0: 0B028381
	v_mul_f32_e32 v130, v130, v66                              // 0000000044E4: 0B048582
	v_mul_f32_e32 v131, v131, v67                              // 0000000044E8: 0B068783
	buffer_load_dwordx4 a[8:11], v38, s[12:15], 0 offen        // 0000000044EC: E05C1000 80830826
	v_mul_f32_e64 v46, -v132, s6                               // 0000000044F4: D105002E 20000D84
	v_mul_f32_e64 v47, -v133, s6                               // 0000000044FC: D105002F 20000D85
	v_mul_f32_e64 v48, -v134, s6                               // 000000004504: D1050030 20000D86
	v_mul_f32_e64 v49, -v135, s6                               // 00000000450C: D1050031 20000D87
	v_exp_f32_e32 v46, v46                                     // 000000004514: 7E5C412E
	v_exp_f32_e32 v47, v47                                     // 000000004518: 7E5E412F
	v_exp_f32_e32 v48, v48                                     // 00000000451C: 7E604130
	v_exp_f32_e32 v49, v49                                     // 000000004520: 7E624131
	buffer_load_dwordx4 a[12:15], v39, s[12:15], 0 offen       // 000000004524: E05C1000 80830C27
	s_add_u32 s12, s78, s12                                    // 00000000452C: 800C0C4E
	s_addc_u32 s13, 0, s13                                     // 000000004530: 820D0D80
	v_add_f32_e64 v46, v46, 1.0                                // 000000004534: D101002E 0001E52E
	v_add_f32_e64 v47, v47, 1.0                                // 00000000453C: D101002F 0001E52F
	v_add_f32_e64 v48, v48, 1.0                                // 000000004544: D1010030 0001E530
	v_add_f32_e64 v49, v49, 1.0                                // 00000000454C: D1010031 0001E531
	v_rcp_f32_e32 v46, v46                                     // 000000004554: 7E5C452E
	v_rcp_f32_e32 v47, v47                                     // 000000004558: 7E5E452F
	v_rcp_f32_e32 v48, v48                                     // 00000000455C: 7E604530
	v_rcp_f32_e32 v49, v49                                     // 000000004560: 7E624531
	v_mul_f32_e32 v132, v132, v46                              // 000000004564: 0B085D84
	v_mul_f32_e32 v133, v133, v47                              // 000000004568: 0B0A5F85
	v_mul_f32_e32 v134, v134, v48                              // 00000000456C: 0B0C6186
	v_mul_f32_e32 v135, v135, v49                              // 000000004570: 0B0E6387
	v_mul_f32_e32 v132, v132, v68                              // 000000004574: 0B088984
	v_mul_f32_e32 v133, v133, v69                              // 000000004578: 0B0A8B85
	v_mul_f32_e32 v134, v134, v70                              // 00000000457C: 0B0C8D86
	v_mul_f32_e32 v135, v135, v71                              // 000000004580: 0B0E8F87
	s_waitcnt vmcnt(12)                                        // 000000004584: BF8C0F7C
	buffer_load_dwordx4 a[16:19], v36, s[12:15], 0 offen       // 000000004588: E05C1000 80831024
	v_mul_f32_e64 v46, -v136, s6                               // 000000004590: D105002E 20000D88
	v_mul_f32_e64 v47, -v137, s6                               // 000000004598: D105002F 20000D89
	v_mul_f32_e64 v48, -v138, s6                               // 0000000045A0: D1050030 20000D8A
	v_mul_f32_e64 v49, -v139, s6                               // 0000000045A8: D1050031 20000D8B
	v_exp_f32_e32 v46, v46                                     // 0000000045B0: 7E5C412E
	v_exp_f32_e32 v47, v47                                     // 0000000045B4: 7E5E412F
	v_exp_f32_e32 v48, v48                                     // 0000000045B8: 7E604130
	v_exp_f32_e32 v49, v49                                     // 0000000045BC: 7E624131
	buffer_load_dwordx4 a[20:23], v37, s[12:15], 0 offen       // 0000000045C0: E05C1000 80831425
	v_add_f32_e64 v46, v46, 1.0                                // 0000000045C8: D101002E 0001E52E
	v_add_f32_e64 v47, v47, 1.0                                // 0000000045D0: D101002F 0001E52F
	v_add_f32_e64 v48, v48, 1.0                                // 0000000045D8: D1010030 0001E530
	v_add_f32_e64 v49, v49, 1.0                                // 0000000045E0: D1010031 0001E531
	v_rcp_f32_e32 v46, v46                                     // 0000000045E8: 7E5C452E
	v_rcp_f32_e32 v47, v47                                     // 0000000045EC: 7E5E452F
	v_rcp_f32_e32 v48, v48                                     // 0000000045F0: 7E604530
	v_rcp_f32_e32 v49, v49                                     // 0000000045F4: 7E624531
	v_mul_f32_e32 v136, v136, v46                              // 0000000045F8: 0B105D88
	v_mul_f32_e32 v137, v137, v47                              // 0000000045FC: 0B125F89
	v_mul_f32_e32 v138, v138, v48                              // 000000004600: 0B14618A
	v_mul_f32_e32 v139, v139, v49                              // 000000004604: 0B16638B
	v_mul_f32_e32 v136, v136, v72                              // 000000004608: 0B109188
	v_mul_f32_e32 v137, v137, v73                              // 00000000460C: 0B129389
	v_mul_f32_e32 v138, v138, v74                              // 000000004610: 0B14958A
	v_mul_f32_e32 v139, v139, v75                              // 000000004614: 0B16978B
	buffer_load_dwordx4 a[24:27], v38, s[12:15], 0 offen       // 000000004618: E05C1000 80831826
	v_mul_f32_e64 v46, -v140, s6                               // 000000004620: D105002E 20000D8C
	v_mul_f32_e64 v47, -v141, s6                               // 000000004628: D105002F 20000D8D
	v_mul_f32_e64 v48, -v142, s6                               // 000000004630: D1050030 20000D8E
	v_mul_f32_e64 v49, -v143, s6                               // 000000004638: D1050031 20000D8F
	v_exp_f32_e32 v46, v46                                     // 000000004640: 7E5C412E
	v_exp_f32_e32 v47, v47                                     // 000000004644: 7E5E412F
	v_exp_f32_e32 v48, v48                                     // 000000004648: 7E604130
	v_exp_f32_e32 v49, v49                                     // 00000000464C: 7E624131
	buffer_load_dwordx4 a[28:31], v39, s[12:15], 0 offen       // 000000004650: E05C1000 80831C27
	s_add_u32 s12, s78, s12                                    // 000000004658: 800C0C4E
	s_addc_u32 s13, 0, s13                                     // 00000000465C: 820D0D80
	v_add_f32_e64 v46, v46, 1.0                                // 000000004660: D101002E 0001E52E
	v_add_f32_e64 v47, v47, 1.0                                // 000000004668: D101002F 0001E52F
	v_add_f32_e64 v48, v48, 1.0                                // 000000004670: D1010030 0001E530
	v_add_f32_e64 v49, v49, 1.0                                // 000000004678: D1010031 0001E531
	v_rcp_f32_e32 v46, v46                                     // 000000004680: 7E5C452E
	v_rcp_f32_e32 v47, v47                                     // 000000004684: 7E5E452F
	v_rcp_f32_e32 v48, v48                                     // 000000004688: 7E604530
	v_rcp_f32_e32 v49, v49                                     // 00000000468C: 7E624531
	v_mul_f32_e32 v140, v140, v46                              // 000000004690: 0B185D8C
	v_mul_f32_e32 v141, v141, v47                              // 000000004694: 0B1A5F8D
	v_mul_f32_e32 v142, v142, v48                              // 000000004698: 0B1C618E
	v_mul_f32_e32 v143, v143, v49                              // 00000000469C: 0B1E638F
	v_mul_f32_e32 v140, v140, v76                              // 0000000046A0: 0B18998C
	v_mul_f32_e32 v141, v141, v77                              // 0000000046A4: 0B1A9B8D
	v_mul_f32_e32 v142, v142, v78                              // 0000000046A8: 0B1C9D8E
	v_mul_f32_e32 v143, v143, v79                              // 0000000046AC: 0B1E9F8F
	s_waitcnt vmcnt(12)                                        // 0000000046B0: BF8C0F7C
	buffer_load_dwordx4 a[32:35], v36, s[12:15], 0 offen       // 0000000046B4: E05C1000 80832024
	v_mul_f32_e64 v46, -v144, s6                               // 0000000046BC: D105002E 20000D90
	v_mul_f32_e64 v47, -v145, s6                               // 0000000046C4: D105002F 20000D91
	v_mul_f32_e64 v48, -v146, s6                               // 0000000046CC: D1050030 20000D92
	v_mul_f32_e64 v49, -v147, s6                               // 0000000046D4: D1050031 20000D93
	v_exp_f32_e32 v46, v46                                     // 0000000046DC: 7E5C412E
	v_exp_f32_e32 v47, v47                                     // 0000000046E0: 7E5E412F
	v_exp_f32_e32 v48, v48                                     // 0000000046E4: 7E604130
	v_exp_f32_e32 v49, v49                                     // 0000000046E8: 7E624131
	buffer_load_dwordx4 a[36:39], v37, s[12:15], 0 offen       // 0000000046EC: E05C1000 80832425
	v_add_f32_e64 v46, v46, 1.0                                // 0000000046F4: D101002E 0001E52E
	v_add_f32_e64 v47, v47, 1.0                                // 0000000046FC: D101002F 0001E52F
	v_add_f32_e64 v48, v48, 1.0                                // 000000004704: D1010030 0001E530
	v_add_f32_e64 v49, v49, 1.0                                // 00000000470C: D1010031 0001E531
	v_rcp_f32_e32 v46, v46                                     // 000000004714: 7E5C452E
	v_rcp_f32_e32 v47, v47                                     // 000000004718: 7E5E452F
	v_rcp_f32_e32 v48, v48                                     // 00000000471C: 7E604530
	v_rcp_f32_e32 v49, v49                                     // 000000004720: 7E624531
	v_mul_f32_e32 v144, v144, v46                              // 000000004724: 0B205D90
	v_mul_f32_e32 v145, v145, v47                              // 000000004728: 0B225F91
	v_mul_f32_e32 v146, v146, v48                              // 00000000472C: 0B246192
	v_mul_f32_e32 v147, v147, v49                              // 000000004730: 0B266393
	v_mul_f32_e32 v144, v144, v80                              // 000000004734: 0B20A190
	v_mul_f32_e32 v145, v145, v81                              // 000000004738: 0B22A391
	v_mul_f32_e32 v146, v146, v82                              // 00000000473C: 0B24A592
	v_mul_f32_e32 v147, v147, v83                              // 000000004740: 0B26A793
	buffer_load_dwordx4 a[40:43], v38, s[12:15], 0 offen       // 000000004744: E05C1000 80832826
	v_mul_f32_e64 v46, -v148, s6                               // 00000000474C: D105002E 20000D94
	v_mul_f32_e64 v47, -v149, s6                               // 000000004754: D105002F 20000D95
	v_mul_f32_e64 v48, -v150, s6                               // 00000000475C: D1050030 20000D96
	v_mul_f32_e64 v49, -v151, s6                               // 000000004764: D1050031 20000D97
	v_exp_f32_e32 v46, v46                                     // 00000000476C: 7E5C412E
	v_exp_f32_e32 v47, v47                                     // 000000004770: 7E5E412F
	v_exp_f32_e32 v48, v48                                     // 000000004774: 7E604130
	v_exp_f32_e32 v49, v49                                     // 000000004778: 7E624131
	buffer_load_dwordx4 a[44:47], v39, s[12:15], 0 offen       // 00000000477C: E05C1000 80832C27
	s_add_u32 s12, s78, s12                                    // 000000004784: 800C0C4E
	s_addc_u32 s13, 0, s13                                     // 000000004788: 820D0D80
	v_add_f32_e64 v46, v46, 1.0                                // 00000000478C: D101002E 0001E52E
	v_add_f32_e64 v47, v47, 1.0                                // 000000004794: D101002F 0001E52F
	v_add_f32_e64 v48, v48, 1.0                                // 00000000479C: D1010030 0001E530
	v_add_f32_e64 v49, v49, 1.0                                // 0000000047A4: D1010031 0001E531
	v_rcp_f32_e32 v46, v46                                     // 0000000047AC: 7E5C452E
	v_rcp_f32_e32 v47, v47                                     // 0000000047B0: 7E5E452F
	v_rcp_f32_e32 v48, v48                                     // 0000000047B4: 7E604530
	v_rcp_f32_e32 v49, v49                                     // 0000000047B8: 7E624531
	v_mul_f32_e32 v148, v148, v46                              // 0000000047BC: 0B285D94
	v_mul_f32_e32 v149, v149, v47                              // 0000000047C0: 0B2A5F95
	v_mul_f32_e32 v150, v150, v48                              // 0000000047C4: 0B2C6196
	v_mul_f32_e32 v151, v151, v49                              // 0000000047C8: 0B2E6397
	v_mul_f32_e32 v148, v148, v84                              // 0000000047CC: 0B28A994
	v_mul_f32_e32 v149, v149, v85                              // 0000000047D0: 0B2AAB95
	v_mul_f32_e32 v150, v150, v86                              // 0000000047D4: 0B2CAD96
	v_mul_f32_e32 v151, v151, v87                              // 0000000047D8: 0B2EAF97
	s_waitcnt vmcnt(12)                                        // 0000000047DC: BF8C0F7C
	buffer_load_dwordx4 a[48:51], v36, s[12:15], 0 offen       // 0000000047E0: E05C1000 80833024
	v_mul_f32_e64 v46, -v152, s6                               // 0000000047E8: D105002E 20000D98
	v_mul_f32_e64 v47, -v153, s6                               // 0000000047F0: D105002F 20000D99
	v_mul_f32_e64 v48, -v154, s6                               // 0000000047F8: D1050030 20000D9A
	v_mul_f32_e64 v49, -v155, s6                               // 000000004800: D1050031 20000D9B
	v_exp_f32_e32 v46, v46                                     // 000000004808: 7E5C412E
	v_exp_f32_e32 v47, v47                                     // 00000000480C: 7E5E412F
	v_exp_f32_e32 v48, v48                                     // 000000004810: 7E604130
	v_exp_f32_e32 v49, v49                                     // 000000004814: 7E624131
	buffer_load_dwordx4 a[52:55], v37, s[12:15], 0 offen       // 000000004818: E05C1000 80833425
	v_add_f32_e64 v46, v46, 1.0                                // 000000004820: D101002E 0001E52E
	v_add_f32_e64 v47, v47, 1.0                                // 000000004828: D101002F 0001E52F
	v_add_f32_e64 v48, v48, 1.0                                // 000000004830: D1010030 0001E530
	v_add_f32_e64 v49, v49, 1.0                                // 000000004838: D1010031 0001E531
	v_rcp_f32_e32 v46, v46                                     // 000000004840: 7E5C452E
	v_rcp_f32_e32 v47, v47                                     // 000000004844: 7E5E452F
	v_rcp_f32_e32 v48, v48                                     // 000000004848: 7E604530
	v_rcp_f32_e32 v49, v49                                     // 00000000484C: 7E624531
	v_mul_f32_e32 v152, v152, v46                              // 000000004850: 0B305D98
	v_mul_f32_e32 v153, v153, v47                              // 000000004854: 0B325F99
	v_mul_f32_e32 v154, v154, v48                              // 000000004858: 0B34619A
	v_mul_f32_e32 v155, v155, v49                              // 00000000485C: 0B36639B
	v_mul_f32_e32 v152, v152, v88                              // 000000004860: 0B30B198
	v_mul_f32_e32 v153, v153, v89                              // 000000004864: 0B32B399
	v_mul_f32_e32 v154, v154, v90                              // 000000004868: 0B34B59A
	v_mul_f32_e32 v155, v155, v91                              // 00000000486C: 0B36B79B
	buffer_load_dwordx4 a[56:59], v38, s[12:15], 0 offen       // 000000004870: E05C1000 80833826
	v_mul_f32_e64 v46, -v156, s6                               // 000000004878: D105002E 20000D9C
	v_mul_f32_e64 v47, -v157, s6                               // 000000004880: D105002F 20000D9D
	v_mul_f32_e64 v48, -v158, s6                               // 000000004888: D1050030 20000D9E
	v_mul_f32_e64 v49, -v159, s6                               // 000000004890: D1050031 20000D9F
	v_exp_f32_e32 v46, v46                                     // 000000004898: 7E5C412E
	v_exp_f32_e32 v47, v47                                     // 00000000489C: 7E5E412F
	v_exp_f32_e32 v48, v48                                     // 0000000048A0: 7E604130
	v_exp_f32_e32 v49, v49                                     // 0000000048A4: 7E624131
	buffer_load_dwordx4 a[60:63], v39, s[12:15], 0 offen       // 0000000048A8: E05C1000 80833C27
	v_add_f32_e64 v46, v46, 1.0                                // 0000000048B0: D101002E 0001E52E
	v_add_f32_e64 v47, v47, 1.0                                // 0000000048B8: D101002F 0001E52F
	v_add_f32_e64 v48, v48, 1.0                                // 0000000048C0: D1010030 0001E530
	v_add_f32_e64 v49, v49, 1.0                                // 0000000048C8: D1010031 0001E531
	v_rcp_f32_e32 v46, v46                                     // 0000000048D0: 7E5C452E
	v_rcp_f32_e32 v47, v47                                     // 0000000048D4: 7E5E452F
	v_rcp_f32_e32 v48, v48                                     // 0000000048D8: 7E604530
	v_rcp_f32_e32 v49, v49                                     // 0000000048DC: 7E624531
	v_mul_f32_e32 v156, v156, v46                              // 0000000048E0: 0B385D9C
	v_mul_f32_e32 v157, v157, v47                              // 0000000048E4: 0B3A5F9D
	v_mul_f32_e32 v158, v158, v48                              // 0000000048E8: 0B3C619E
	v_mul_f32_e32 v159, v159, v49                              // 0000000048EC: 0B3E639F
	v_mul_f32_e32 v156, v156, v92                              // 0000000048F0: 0B38B99C
	v_mul_f32_e32 v157, v157, v93                              // 0000000048F4: 0B3ABB9D
	v_mul_f32_e32 v158, v158, v94                              // 0000000048F8: 0B3CBD9E
	v_mul_f32_e32 v159, v159, v95                              // 0000000048FC: 0B3EBF9F
	v_mul_f32_dpp v128, v16, v128 row_newbcast:0 row_mask:0xf bank_mask:0xf// 000000004900: 0B0100FA FF015010
	v_mul_f32_dpp v129, v16, v129 row_newbcast:1 row_mask:0xf bank_mask:0xf// 000000004908: 0B0302FA FF015110
	v_mul_f32_dpp v130, v16, v130 row_newbcast:2 row_mask:0xf bank_mask:0xf// 000000004910: 0B0504FA FF015210
	v_mul_f32_dpp v131, v16, v131 row_newbcast:3 row_mask:0xf bank_mask:0xf// 000000004918: 0B0706FA FF015310
	v_mul_f32_dpp v132, v16, v132 row_newbcast:0 row_mask:0xf bank_mask:0xf// 000000004920: 0B0908FA FF015010
	v_mul_f32_dpp v133, v16, v133 row_newbcast:1 row_mask:0xf bank_mask:0xf// 000000004928: 0B0B0AFA FF015110
	v_mul_f32_dpp v134, v16, v134 row_newbcast:2 row_mask:0xf bank_mask:0xf// 000000004930: 0B0D0CFA FF015210
	v_mul_f32_dpp v135, v16, v135 row_newbcast:3 row_mask:0xf bank_mask:0xf// 000000004938: 0B0F0EFA FF015310
	v_mul_f32_dpp v136, v16, v136 row_newbcast:4 row_mask:0xf bank_mask:0xf// 000000004940: 0B1110FA FF015410
	v_mul_f32_dpp v137, v16, v137 row_newbcast:5 row_mask:0xf bank_mask:0xf// 000000004948: 0B1312FA FF015510
	v_mul_f32_dpp v138, v16, v138 row_newbcast:6 row_mask:0xf bank_mask:0xf// 000000004950: 0B1514FA FF015610
	v_mul_f32_dpp v139, v16, v139 row_newbcast:7 row_mask:0xf bank_mask:0xf// 000000004958: 0B1716FA FF015710
	v_mul_f32_dpp v140, v16, v140 row_newbcast:4 row_mask:0xf bank_mask:0xf// 000000004960: 0B1918FA FF015410
	v_mul_f32_dpp v141, v16, v141 row_newbcast:5 row_mask:0xf bank_mask:0xf// 000000004968: 0B1B1AFA FF015510
	v_mul_f32_dpp v142, v16, v142 row_newbcast:6 row_mask:0xf bank_mask:0xf// 000000004970: 0B1D1CFA FF015610
	v_mul_f32_dpp v143, v16, v143 row_newbcast:7 row_mask:0xf bank_mask:0xf// 000000004978: 0B1F1EFA FF015710
	v_mul_f32_dpp v144, v16, v144 row_newbcast:8 row_mask:0xf bank_mask:0xf// 000000004980: 0B2120FA FF015810
	v_mul_f32_dpp v145, v16, v145 row_newbcast:9 row_mask:0xf bank_mask:0xf// 000000004988: 0B2322FA FF015910
	v_mul_f32_dpp v146, v16, v146 row_newbcast:10 row_mask:0xf bank_mask:0xf// 000000004990: 0B2524FA FF015A10
	v_mul_f32_dpp v147, v16, v147 row_newbcast:11 row_mask:0xf bank_mask:0xf// 000000004998: 0B2726FA FF015B10
	v_mul_f32_dpp v148, v16, v148 row_newbcast:8 row_mask:0xf bank_mask:0xf// 0000000049A0: 0B2928FA FF015810
	v_mul_f32_dpp v149, v16, v149 row_newbcast:9 row_mask:0xf bank_mask:0xf// 0000000049A8: 0B2B2AFA FF015910
	v_mul_f32_dpp v150, v16, v150 row_newbcast:10 row_mask:0xf bank_mask:0xf// 0000000049B0: 0B2D2CFA FF015A10
	v_mul_f32_dpp v151, v16, v151 row_newbcast:11 row_mask:0xf bank_mask:0xf// 0000000049B8: 0B2F2EFA FF015B10
	v_mul_f32_dpp v152, v16, v152 row_newbcast:12 row_mask:0xf bank_mask:0xf// 0000000049C0: 0B3130FA FF015C10
	v_mul_f32_dpp v153, v16, v153 row_newbcast:13 row_mask:0xf bank_mask:0xf// 0000000049C8: 0B3332FA FF015D10
	v_mul_f32_dpp v154, v16, v154 row_newbcast:14 row_mask:0xf bank_mask:0xf// 0000000049D0: 0B3534FA FF015E10
	v_mul_f32_dpp v155, v16, v155 row_newbcast:15 row_mask:0xf bank_mask:0xf// 0000000049D8: 0B3736FA FF015F10
	v_mul_f32_dpp v156, v16, v156 row_newbcast:12 row_mask:0xf bank_mask:0xf// 0000000049E0: 0B3938FA FF015C10
	v_mul_f32_dpp v157, v16, v157 row_newbcast:13 row_mask:0xf bank_mask:0xf// 0000000049E8: 0B3B3AFA FF015D10
	v_mul_f32_dpp v158, v16, v158 row_newbcast:14 row_mask:0xf bank_mask:0xf// 0000000049F0: 0B3D3CFA FF015E10
	v_mul_f32_dpp v159, v16, v159 row_newbcast:15 row_mask:0xf bank_mask:0xf// 0000000049F8: 0B3F3EFA FF015F10
	v_lshlrev_b32_e32 v46, 2, v0                               // 000000004A00: 245C0082
	s_mul_i32 s60, s82, s71                                    // 000000004A04: 923C4752
	v_add_u32_e64 v80, v46, s60                                // 000000004A08: D1340050 0000792E
	v_mov_b32_e32 v81, 0                                       // 000000004A10: 7EA20280
	s_mul_i32 s60, s83, s71                                    // 000000004A14: 923C4753
	v_add_u32_e64 v82, v46, s60                                // 000000004A18: D1340052 0000792E
	v_mov_b32_e32 v83, 0                                       // 000000004A20: 7EA60280
	s_mul_i32 s60, s84, s71                                    // 000000004A24: 923C4754
	v_add_u32_e64 v84, v46, s60                                // 000000004A28: D1340054 0000792E
	v_mov_b32_e32 v85, 0                                       // 000000004A30: 7EAA0280
	s_mul_i32 s60, s85, s71                                    // 000000004A34: 923C4755
	v_add_u32_e64 v86, v46, s60                                // 000000004A38: D1340056 0000792E
	v_mov_b32_e32 v87, 0                                       // 000000004A40: 7EAE0280
	s_mul_i32 s60, s86, s71                                    // 000000004A44: 923C4756
	v_add_u32_e64 v88, v46, s60                                // 000000004A48: D1340058 0000792E
	v_mov_b32_e32 v89, 0                                       // 000000004A50: 7EB20280
	s_mul_i32 s60, s87, s71                                    // 000000004A54: 923C4757
	v_add_u32_e64 v90, v46, s60                                // 000000004A58: D134005A 0000792E
	v_mov_b32_e32 v91, 0                                       // 000000004A60: 7EB60280
	s_mul_i32 s60, s88, s71                                    // 000000004A64: 923C4758
	v_add_u32_e64 v92, v46, s60                                // 000000004A68: D134005C 0000792E
	v_mov_b32_e32 v93, 0                                       // 000000004A70: 7EBA0280
	s_mul_i32 s60, s89, s71                                    // 000000004A74: 923C4759
	v_add_u32_e64 v94, v46, s60                                // 000000004A78: D134005E 0000792E
	v_mov_b32_e32 v95, 0                                       // 000000004A80: 7EBE0280
	buffer_load_dword v11, v5, s[16:19], 0 offen               // 000000004A84: E0501000 80040B05
	v_mov_b32_e32 v20, 0x358637bd                              // 000000004A8C: 7E2802FF 358637BD
	v_mov_b32_e32 v21, 0x358637bd                              // 000000004A94: 7E2A02FF 358637BD
	v_max3_f32 v20, |v128|, |v129|, v20                        // 000000004A9C: D1D30314 04530380
	v_max3_f32 v20, |v130|, |v131|, v20                        // 000000004AA4: D1D30314 04530782
	v_max3_f32 v21, |v132|, |v133|, v21                        // 000000004AAC: D1D30315 04570B84
	v_max3_f32 v21, |v134|, |v135|, v21                        // 000000004AB4: D1D30315 04570F86
	v_max3_f32 v20, |v136|, |v137|, v20                        // 000000004ABC: D1D30314 04531388
	v_max3_f32 v20, |v138|, |v139|, v20                        // 000000004AC4: D1D30314 0453178A
	v_max3_f32 v21, |v140|, |v141|, v21                        // 000000004ACC: D1D30315 04571B8C
	v_max3_f32 v21, |v142|, |v143|, v21                        // 000000004AD4: D1D30315 04571F8E
	v_max3_f32 v20, |v144|, |v145|, v20                        // 000000004ADC: D1D30314 04532390
	v_max3_f32 v20, |v146|, |v147|, v20                        // 000000004AE4: D1D30314 04532792
	v_max3_f32 v21, |v148|, |v149|, v21                        // 000000004AEC: D1D30315 04572B94
	v_max3_f32 v21, |v150|, |v151|, v21                        // 000000004AF4: D1D30315 04572F96
	v_max3_f32 v20, |v152|, |v153|, v20                        // 000000004AFC: D1D30314 04533398
	v_max3_f32 v20, |v154|, |v155|, v20                        // 000000004B04: D1D30314 0453379A
	v_max3_f32 v21, |v156|, |v157|, v21                        // 000000004B0C: D1D30315 04573B9C
	v_max3_f32 v21, |v158|, |v159|, v21                        // 000000004B14: D1D30315 04573F9E
	v_lshlrev_b32_e32 v46, 3, v0                               // 000000004B1C: 245C0083
	s_mul_i32 s60, 0x200, s7                                   // 000000004B20: 923C07FF 00000200
	v_add_u32_e32 v46, s60, v46                                // 000000004B28: 685C5C3C
	ds_write_b64 v46, v[20:21] offset:16640                    // 000000004B2C: D89A4100 0000142E
	s_waitcnt lgkmcnt(0)                                       // 000000004B34: BF8CC07F
	s_barrier                                                  // 000000004B38: BF8A0000
	v_and_b32_e32 v46, 15, v0                                  // 000000004B3C: 265C008F
	v_lshlrev_b32_e32 v46, 3, v46                              // 000000004B40: 245C5C83
	ds_read_b64 v[96:97], v46 offset:16640                     // 000000004B44: D8EC4100 6000002E
	ds_read_b64 v[98:99], v46 offset:16768                     // 000000004B4C: D8EC4180 6200002E
	ds_read_b64 v[100:101], v46 offset:16896                   // 000000004B54: D8EC4200 6400002E
	ds_read_b64 v[102:103], v46 offset:17024                   // 000000004B5C: D8EC4280 6600002E
	ds_read_b64 v[104:105], v46 offset:17152                   // 000000004B64: D8EC4300 6800002E
	ds_read_b64 v[106:107], v46 offset:17280                   // 000000004B6C: D8EC4380 6A00002E
	ds_read_b64 v[108:109], v46 offset:17408                   // 000000004B74: D8EC4400 6C00002E
	ds_read_b64 v[110:111], v46 offset:17536                   // 000000004B7C: D8EC4480 6E00002E
	ds_read_b64 v[112:113], v46 offset:17664                   // 000000004B84: D8EC4500 7000002E
	ds_read_b64 v[114:115], v46 offset:17792                   // 000000004B8C: D8EC4580 7200002E
	ds_read_b64 v[116:117], v46 offset:17920                   // 000000004B94: D8EC4600 7400002E
	ds_read_b64 v[118:119], v46 offset:18048                   // 000000004B9C: D8EC4680 7600002E
	ds_read_b64 v[120:121], v46 offset:18176                   // 000000004BA4: D8EC4700 7800002E
	ds_read_b64 v[122:123], v46 offset:18304                   // 000000004BAC: D8EC4780 7A00002E
	ds_read_b64 v[124:125], v46 offset:18432                   // 000000004BB4: D8EC4800 7C00002E
	ds_read_b64 v[126:127], v46 offset:18560                   // 000000004BBC: D8EC4880 7E00002E
	s_waitcnt lgkmcnt(0)                                       // 000000004BC4: BF8CC07F
	v_max3_f32 v20, |v96|, |v98|, v20                          // 000000004BC8: D1D30314 0452C560
	v_max3_f32 v21, |v97|, |v99|, v21                          // 000000004BD0: D1D30315 0456C761
	v_max3_f32 v20, |v100|, |v102|, v20                        // 000000004BD8: D1D30314 0452CD64
	v_max3_f32 v21, |v101|, |v103|, v21                        // 000000004BE0: D1D30315 0456CF65
	v_max3_f32 v20, |v104|, |v106|, v20                        // 000000004BE8: D1D30314 0452D568
	v_max3_f32 v21, |v105|, |v107|, v21                        // 000000004BF0: D1D30315 0456D769
	v_max3_f32 v20, |v108|, |v110|, v20                        // 000000004BF8: D1D30314 0452DD6C
	v_max3_f32 v21, |v109|, |v111|, v21                        // 000000004C00: D1D30315 0456DF6D
	v_max3_f32 v20, |v112|, |v114|, v20                        // 000000004C08: D1D30314 0452E570
	v_max3_f32 v21, |v113|, |v115|, v21                        // 000000004C10: D1D30315 0456E771
	v_max3_f32 v20, |v116|, |v118|, v20                        // 000000004C18: D1D30314 0452ED74
	v_max3_f32 v21, |v117|, |v119|, v21                        // 000000004C20: D1D30315 0456EF75
	v_max3_f32 v20, |v120|, |v122|, v20                        // 000000004C28: D1D30314 0452F578
	v_max3_f32 v21, |v121|, |v123|, v21                        // 000000004C30: D1D30315 0456F779
	v_max3_f32 v20, |v124|, |v126|, v20                        // 000000004C38: D1D30314 0452FD7C
	v_max3_f32 v21, |v125|, |v127|, v21                        // 000000004C40: D1D30315 0456FF7D
	v_rcp_f32_e32 v20, v20                                     // 000000004C48: 7E284514
	v_rcp_f32_e32 v21, v21                                     // 000000004C4C: 7E2A4515
	v_mov_b32_e32 v46, 0x43700000                              // 000000004C50: 7E5C02FF 43700000
	v_mul_f32_e32 v20, v46, v20                                // 000000004C58: 0A28292E
	v_mul_f32_e32 v21, v46, v21                                // 000000004C5C: 0A2A2B2E
	v_mul_f32_e32 v128, v20, v128                              // 000000004C60: 0B010114
	v_mul_f32_e32 v129, v20, v129                              // 000000004C64: 0B030314
	v_mul_f32_e32 v130, v20, v130                              // 000000004C68: 0B050514
	v_mul_f32_e32 v131, v20, v131                              // 000000004C6C: 0B070714
	v_cvt_pk_fp8_f32 v128, v128, v129                          // 000000004C70: D2A20080 00030380
	v_cvt_pk_fp8_f32 v128, v130, v131 op_sel:[0,0,1]           // 000000004C78: D2A24080 00030782
	v_mul_f32_e32 v132, v21, v132                              // 000000004C80: 0B090915
	v_mul_f32_e32 v133, v21, v133                              // 000000004C84: 0B0B0B15
	v_mul_f32_e32 v134, v21, v134                              // 000000004C88: 0B0D0D15
	v_mul_f32_e32 v135, v21, v135                              // 000000004C8C: 0B0F0F15
	v_cvt_pk_fp8_f32 v129, v132, v133                          // 000000004C90: D2A20081 00030B84
	v_cvt_pk_fp8_f32 v129, v134, v135 op_sel:[0,0,1]           // 000000004C98: D2A24081 00030F86
	v_mul_f32_e32 v136, v20, v136                              // 000000004CA0: 0B111114
	v_mul_f32_e32 v137, v20, v137                              // 000000004CA4: 0B131314
	v_mul_f32_e32 v138, v20, v138                              // 000000004CA8: 0B151514
	v_mul_f32_e32 v139, v20, v139                              // 000000004CAC: 0B171714
	v_cvt_pk_fp8_f32 v130, v136, v137                          // 000000004CB0: D2A20082 00031388
	v_cvt_pk_fp8_f32 v130, v138, v139 op_sel:[0,0,1]           // 000000004CB8: D2A24082 0003178A
	v_mul_f32_e32 v140, v21, v140                              // 000000004CC0: 0B191915
	v_mul_f32_e32 v141, v21, v141                              // 000000004CC4: 0B1B1B15
	v_mul_f32_e32 v142, v21, v142                              // 000000004CC8: 0B1D1D15
	v_mul_f32_e32 v143, v21, v143                              // 000000004CCC: 0B1F1F15
	v_cvt_pk_fp8_f32 v131, v140, v141                          // 000000004CD0: D2A20083 00031B8C
	v_cvt_pk_fp8_f32 v131, v142, v143 op_sel:[0,0,1]           // 000000004CD8: D2A24083 00031F8E
	v_mul_f32_e32 v144, v20, v144                              // 000000004CE0: 0B212114
	v_mul_f32_e32 v145, v20, v145                              // 000000004CE4: 0B232314
	v_mul_f32_e32 v146, v20, v146                              // 000000004CE8: 0B252514
	v_mul_f32_e32 v147, v20, v147                              // 000000004CEC: 0B272714
	v_cvt_pk_fp8_f32 v132, v144, v145                          // 000000004CF0: D2A20084 00032390
	v_cvt_pk_fp8_f32 v132, v146, v147 op_sel:[0,0,1]           // 000000004CF8: D2A24084 00032792
	v_mul_f32_e32 v148, v21, v148                              // 000000004D00: 0B292915
	v_mul_f32_e32 v149, v21, v149                              // 000000004D04: 0B2B2B15
	v_mul_f32_e32 v150, v21, v150                              // 000000004D08: 0B2D2D15
	v_mul_f32_e32 v151, v21, v151                              // 000000004D0C: 0B2F2F15
	v_cvt_pk_fp8_f32 v133, v148, v149                          // 000000004D10: D2A20085 00032B94
	v_cvt_pk_fp8_f32 v133, v150, v151 op_sel:[0,0,1]           // 000000004D18: D2A24085 00032F96
	v_mul_f32_e32 v152, v20, v152                              // 000000004D20: 0B313114
	v_mul_f32_e32 v153, v20, v153                              // 000000004D24: 0B333314
	v_mul_f32_e32 v154, v20, v154                              // 000000004D28: 0B353514
	v_mul_f32_e32 v155, v20, v155                              // 000000004D2C: 0B373714
	v_cvt_pk_fp8_f32 v134, v152, v153                          // 000000004D30: D2A20086 00033398
	v_cvt_pk_fp8_f32 v134, v154, v155 op_sel:[0,0,1]           // 000000004D38: D2A24086 0003379A
	v_mul_f32_e32 v156, v21, v156                              // 000000004D40: 0B393915
	v_mul_f32_e32 v157, v21, v157                              // 000000004D44: 0B3B3B15
	v_mul_f32_e32 v158, v21, v158                              // 000000004D48: 0B3D3D15
	v_mul_f32_e32 v159, v21, v159                              // 000000004D4C: 0B3F3F15
	v_cvt_pk_fp8_f32 v135, v156, v157                          // 000000004D50: D2A20087 00033B9C
	v_cvt_pk_fp8_f32 v135, v158, v159 op_sel:[0,0,1]           // 000000004D58: D2A24087 00033F9E
	v_rcp_f32_e32 v22, v20                                     // 000000004D60: 7E2C4514
	v_rcp_f32_e32 v23, v21                                     // 000000004D64: 7E2E4515
	v_lshrrev_b32_e32 v46, 5, v0                               // 000000004D68: 205C0085
	v_lshlrev_b32_e32 v47, 5, v46                              // 000000004D6C: 245E5C85
	v_and_b32_e32 v46, 31, v0                                  // 000000004D70: 265C009F
	v_lshrrev_b32_e32 v48, 4, v46                              // 000000004D74: 20605C84
	v_add_u32_e32 v47, v48, v47                                // 000000004D78: 685E5F30
	v_and_b32_e32 v46, 15, v0                                  // 000000004D7C: 265C008F
	v_lshlrev_b32_e32 v46, 1, v46                              // 000000004D80: 245C5C81
	v_add_u32_e32 v47, v46, v47                                // 000000004D84: 685E5F2E
	v_lshlrev_b32_e32 v46, 2, v47                              // 000000004D88: 245C5E82
	s_mul_i32 s60, 0x100, s7                                   // 000000004D8C: 923C07FF 00000100
	v_add_u32_e64 v46, v46, s60                                // 000000004D94: D134002E 0000792E
	ds_write_b32 v46, v128 offset:18688                        // 000000004D9C: D81A4900 0000802E
	ds_write_b32 v46, v129 offset:22784                        // 000000004DA4: D81A5900 0000812E
	ds_write_b32 v46, v130 offset:19712                        // 000000004DAC: D81A4D00 0000822E
	ds_write_b32 v46, v131 offset:23808                        // 000000004DB4: D81A5D00 0000832E
	ds_write_b32 v46, v132 offset:20736                        // 000000004DBC: D81A5100 0000842E
	ds_write_b32 v46, v133 offset:24832                        // 000000004DC4: D81A6100 0000852E
	ds_write_b32 v46, v134 offset:21760                        // 000000004DCC: D81A5500 0000862E
	ds_write_b32 v46, v135 offset:25856                        // 000000004DD4: D81A6500 0000872E
	s_waitcnt lgkmcnt(0)                                       // 000000004DDC: BF8CC07F
	s_barrier                                                  // 000000004DE0: BF8A0000
	v_lshrrev_b32_e32 v46, 4, v0                               // 000000004DE4: 205C0084
	v_lshlrev_b32_e32 v47, 6, v46                              // 000000004DE8: 245E5C86
	v_and_b32_e32 v46, 15, v0                                  // 000000004DEC: 265C008F
	v_lshlrev_b32_e32 v46, 1, v46                              // 000000004DF0: 245C5C81
	v_add_u32_e32 v47, v46, v47                                // 000000004DF4: 685E5F2E
	v_lshlrev_b32_e32 v46, 2, v47                              // 000000004DF8: 245C5E82
	ds_read_b64 v[128:129], v46 offset:18688                   // 000000004DFC: D8EC4900 8000002E
	ds_read_b64 v[130:131], v46 offset:18816                   // 000000004E04: D8EC4980 8200002E
	ds_read_b64 v[132:133], v46 offset:19712                   // 000000004E0C: D8EC4D00 8400002E
	ds_read_b64 v[134:135], v46 offset:19840                   // 000000004E14: D8EC4D80 8600002E
	ds_read_b64 v[136:137], v46 offset:20736                   // 000000004E1C: D8EC5100 8800002E
	ds_read_b64 v[138:139], v46 offset:20864                   // 000000004E24: D8EC5180 8A00002E
	ds_read_b64 v[140:141], v46 offset:21760                   // 000000004E2C: D8EC5500 8C00002E
	ds_read_b64 v[142:143], v46 offset:21888                   // 000000004E34: D8EC5580 8E00002E
	ds_read_b64 v[144:145], v46 offset:22784                   // 000000004E3C: D8EC5900 9000002E
	ds_read_b64 v[146:147], v46 offset:22912                   // 000000004E44: D8EC5980 9200002E
	ds_read_b64 v[148:149], v46 offset:23808                   // 000000004E4C: D8EC5D00 9400002E
	ds_read_b64 v[150:151], v46 offset:23936                   // 000000004E54: D8EC5D80 9600002E
	ds_read_b64 v[152:153], v46 offset:24832                   // 000000004E5C: D8EC6100 9800002E
	ds_read_b64 v[154:155], v46 offset:24960                   // 000000004E64: D8EC6180 9A00002E
	ds_read_b64 v[156:157], v46 offset:25856                   // 000000004E6C: D8EC6500 9C00002E
	ds_read_b64 v[158:159], v46 offset:25984                   // 000000004E74: D8EC6580 9E00002E
	s_add_u32 s12, s56, s12                                    // 000000004E7C: 800C0C38
	s_addc_u32 s13, 0, s13                                     // 000000004E80: 820D0D80
	s_add_u32 s16, s79, s16                                    // 000000004E84: 8010104F
	s_addc_u32 s17, 0, s17                                     // 000000004E88: 82111180
	s_mov_b32 s80, 0                                           // 000000004E8C: BED00080
	s_waitcnt vmcnt(0) expcnt(0) lgkmcnt(0)                    // 000000004E90: BF8C0000

0000000000004e94 <label_08E5>:
	s_waitcnt vmcnt(29)                                        // 000000004E94: BF8C4F7D
	s_barrier                                                  // 000000004E98: BF8A0000
	v_mfma_f32_16x16x32_fp8_fp8 v[160:163], a[0:1], v[128:129], 0// 000000004E9C: D3F300A0 0A030100
	v_mfma_f32_16x16x32_fp8_fp8 v[160:163], a[2:3], v[130:131], v[160:163]// 000000004EA4: D3F300A0 0E830502
	buffer_load_dwordx4 a[64:67], v36, s[12:15], 0 offen       // 000000004EAC: E05C1000 80834024
	v_mfma_f32_16x16x32_fp8_fp8 v[164:167], a[0:1], v[144:145], 0// 000000004EB4: D3F300A4 0A032100
	v_mfma_f32_16x16x32_fp8_fp8 v[164:167], a[2:3], v[146:147], v[164:167]// 000000004EBC: D3F300A4 0E932502
	v_mfma_f32_16x16x32_fp8_fp8 v[168:171], a[4:5], v[128:129], 0// 000000004EC4: D3F300A8 0A030104
	v_mfma_f32_16x16x32_fp8_fp8 v[168:171], a[6:7], v[130:131], v[168:171]// 000000004ECC: D3F300A8 0EA30506
	buffer_load_dwordx4 a[68:71], v37, s[12:15], 0 offen       // 000000004ED4: E05C1000 80834425
	v_mfma_f32_16x16x32_fp8_fp8 v[172:175], a[4:5], v[144:145], 0// 000000004EDC: D3F300AC 0A032104
	v_mfma_f32_16x16x32_fp8_fp8 v[172:175], a[6:7], v[146:147], v[172:175]// 000000004EE4: D3F300AC 0EB32506
	v_mfma_f32_16x16x32_fp8_fp8 v[176:179], a[8:9], v[128:129], 0// 000000004EEC: D3F300B0 0A030108
	v_mfma_f32_16x16x32_fp8_fp8 v[176:179], a[10:11], v[130:131], v[176:179]// 000000004EF4: D3F300B0 0EC3050A
	buffer_load_dwordx4 a[72:75], v38, s[12:15], 0 offen       // 000000004EFC: E05C1000 80834826
	v_mfma_f32_16x16x32_fp8_fp8 v[180:183], a[8:9], v[144:145], 0// 000000004F04: D3F300B4 0A032108
	v_mfma_f32_16x16x32_fp8_fp8 v[180:183], a[10:11], v[146:147], v[180:183]// 000000004F0C: D3F300B4 0ED3250A
	v_mfma_f32_16x16x32_fp8_fp8 v[184:187], a[12:13], v[128:129], 0// 000000004F14: D3F300B8 0A03010C
	v_mfma_f32_16x16x32_fp8_fp8 v[184:187], a[14:15], v[130:131], v[184:187]// 000000004F1C: D3F300B8 0EE3050E
	buffer_load_dwordx4 a[76:79], v39, s[12:15], 0 offen       // 000000004F24: E05C1000 80834C27
	s_add_u32 s12, s78, s12                                    // 000000004F2C: 800C0C4E
	s_addc_u32 s13, 0, s13                                     // 000000004F30: 820D0D80
	v_mfma_f32_16x16x32_fp8_fp8 v[188:191], a[12:13], v[144:145], 0// 000000004F34: D3F300BC 0A03210C
	v_mfma_f32_16x16x32_fp8_fp8 v[188:191], a[14:15], v[146:147], v[188:191]// 000000004F3C: D3F300BC 0EF3250E
	s_waitcnt vmcnt(29)                                        // 000000004F44: BF8C4F7D
	v_mfma_f32_16x16x32_fp8_fp8 v[160:163], a[16:17], v[132:133], v[160:163]// 000000004F48: D3F300A0 0E830910
	v_mfma_f32_16x16x32_fp8_fp8 v[160:163], a[18:19], v[134:135], v[160:163]// 000000004F50: D3F300A0 0E830D12
	buffer_load_dwordx4 a[80:83], v36, s[12:15], 0 offen       // 000000004F58: E05C1000 80835024
	v_mfma_f32_16x16x32_fp8_fp8 v[164:167], a[16:17], v[148:149], v[164:167]// 000000004F60: D3F300A4 0E932910
	v_mfma_f32_16x16x32_fp8_fp8 v[164:167], a[18:19], v[150:151], v[164:167]// 000000004F68: D3F300A4 0E932D12
	v_mfma_f32_16x16x32_fp8_fp8 v[168:171], a[20:21], v[132:133], v[168:171]// 000000004F70: D3F300A8 0EA30914
	v_mfma_f32_16x16x32_fp8_fp8 v[168:171], a[22:23], v[134:135], v[168:171]// 000000004F78: D3F300A8 0EA30D16
	buffer_load_dwordx4 a[84:87], v37, s[12:15], 0 offen       // 000000004F80: E05C1000 80835425
	v_mfma_f32_16x16x32_fp8_fp8 v[172:175], a[20:21], v[148:149], v[172:175]// 000000004F88: D3F300AC 0EB32914
	v_mfma_f32_16x16x32_fp8_fp8 v[172:175], a[22:23], v[150:151], v[172:175]// 000000004F90: D3F300AC 0EB32D16
	v_mfma_f32_16x16x32_fp8_fp8 v[176:179], a[24:25], v[132:133], v[176:179]// 000000004F98: D3F300B0 0EC30918
	v_mfma_f32_16x16x32_fp8_fp8 v[176:179], a[26:27], v[134:135], v[176:179]// 000000004FA0: D3F300B0 0EC30D1A
	buffer_load_dwordx4 a[88:91], v38, s[12:15], 0 offen       // 000000004FA8: E05C1000 80835826
	v_mfma_f32_16x16x32_fp8_fp8 v[180:183], a[24:25], v[148:149], v[180:183]// 000000004FB0: D3F300B4 0ED32918
	v_mfma_f32_16x16x32_fp8_fp8 v[180:183], a[26:27], v[150:151], v[180:183]// 000000004FB8: D3F300B4 0ED32D1A
	v_mfma_f32_16x16x32_fp8_fp8 v[184:187], a[28:29], v[132:133], v[184:187]// 000000004FC0: D3F300B8 0EE3091C
	v_mfma_f32_16x16x32_fp8_fp8 v[184:187], a[30:31], v[134:135], v[184:187]// 000000004FC8: D3F300B8 0EE30D1E
	buffer_load_dwordx4 a[92:95], v39, s[12:15], 0 offen       // 000000004FD0: E05C1000 80835C27
	s_add_u32 s12, s78, s12                                    // 000000004FD8: 800C0C4E
	s_addc_u32 s13, 0, s13                                     // 000000004FDC: 820D0D80
	v_mfma_f32_16x16x32_fp8_fp8 v[188:191], a[28:29], v[148:149], v[188:191]// 000000004FE0: D3F300BC 0EF3291C
	v_mfma_f32_16x16x32_fp8_fp8 v[188:191], a[30:31], v[150:151], v[188:191]// 000000004FE8: D3F300BC 0EF32D1E
	s_waitcnt vmcnt(29)                                        // 000000004FF0: BF8C4F7D
	v_mfma_f32_16x16x32_fp8_fp8 v[160:163], a[32:33], v[136:137], v[160:163]// 000000004FF4: D3F300A0 0E831120
	v_mfma_f32_16x16x32_fp8_fp8 v[160:163], a[34:35], v[138:139], v[160:163]// 000000004FFC: D3F300A0 0E831522
	buffer_load_dwordx4 a[96:99], v36, s[12:15], 0 offen       // 000000005004: E05C1000 80836024
	v_mfma_f32_16x16x32_fp8_fp8 v[164:167], a[32:33], v[152:153], v[164:167]// 00000000500C: D3F300A4 0E933120
	v_mfma_f32_16x16x32_fp8_fp8 v[164:167], a[34:35], v[154:155], v[164:167]// 000000005014: D3F300A4 0E933522
	v_mfma_f32_16x16x32_fp8_fp8 v[168:171], a[36:37], v[136:137], v[168:171]// 00000000501C: D3F300A8 0EA31124
	v_mfma_f32_16x16x32_fp8_fp8 v[168:171], a[38:39], v[138:139], v[168:171]// 000000005024: D3F300A8 0EA31526
	buffer_load_dwordx4 a[100:103], v37, s[12:15], 0 offen     // 00000000502C: E05C1000 80836425
	v_mfma_f32_16x16x32_fp8_fp8 v[172:175], a[36:37], v[152:153], v[172:175]// 000000005034: D3F300AC 0EB33124
	v_mfma_f32_16x16x32_fp8_fp8 v[172:175], a[38:39], v[154:155], v[172:175]// 00000000503C: D3F300AC 0EB33526
	v_mfma_f32_16x16x32_fp8_fp8 v[176:179], a[40:41], v[136:137], v[176:179]// 000000005044: D3F300B0 0EC31128
	v_mfma_f32_16x16x32_fp8_fp8 v[176:179], a[42:43], v[138:139], v[176:179]// 00000000504C: D3F300B0 0EC3152A
	buffer_load_dwordx4 a[104:107], v38, s[12:15], 0 offen     // 000000005054: E05C1000 80836826
	v_mfma_f32_16x16x32_fp8_fp8 v[180:183], a[40:41], v[152:153], v[180:183]// 00000000505C: D3F300B4 0ED33128
	v_mfma_f32_16x16x32_fp8_fp8 v[180:183], a[42:43], v[154:155], v[180:183]// 000000005064: D3F300B4 0ED3352A
	v_mfma_f32_16x16x32_fp8_fp8 v[184:187], a[44:45], v[136:137], v[184:187]// 00000000506C: D3F300B8 0EE3112C
	v_mfma_f32_16x16x32_fp8_fp8 v[184:187], a[46:47], v[138:139], v[184:187]// 000000005074: D3F300B8 0EE3152E
	buffer_load_dwordx4 a[108:111], v39, s[12:15], 0 offen     // 00000000507C: E05C1000 80836C27
	s_add_u32 s12, s78, s12                                    // 000000005084: 800C0C4E
	s_addc_u32 s13, 0, s13                                     // 000000005088: 820D0D80
	v_mfma_f32_16x16x32_fp8_fp8 v[188:191], a[44:45], v[152:153], v[188:191]// 00000000508C: D3F300BC 0EF3312C
	v_mfma_f32_16x16x32_fp8_fp8 v[188:191], a[46:47], v[154:155], v[188:191]// 000000005094: D3F300BC 0EF3352E
	s_waitcnt vmcnt(28)                                        // 00000000509C: BF8C4F7C
	v_mfma_f32_16x16x32_fp8_fp8 v[160:163], a[48:49], v[140:141], v[160:163]// 0000000050A0: D3F300A0 0E831930
	v_mfma_f32_16x16x32_fp8_fp8 v[160:163], a[50:51], v[142:143], v[160:163]// 0000000050A8: D3F300A0 0E831D32
	buffer_load_dwordx4 a[112:115], v36, s[12:15], 0 offen     // 0000000050B0: E05C1000 80837024
	v_mfma_f32_16x16x32_fp8_fp8 v[164:167], a[48:49], v[156:157], v[164:167]// 0000000050B8: D3F300A4 0E933930
	v_mfma_f32_16x16x32_fp8_fp8 v[164:167], a[50:51], v[158:159], v[164:167]// 0000000050C0: D3F300A4 0E933D32
	buffer_load_dword v12, v5, s[16:19], 0 offen               // 0000000050C8: E0501000 80040C05
	v_mfma_f32_16x16x32_fp8_fp8 v[168:171], a[52:53], v[140:141], v[168:171]// 0000000050D0: D3F300A8 0EA31934
	v_mfma_f32_16x16x32_fp8_fp8 v[168:171], a[54:55], v[142:143], v[168:171]// 0000000050D8: D3F300A8 0EA31D36
	buffer_load_dwordx4 a[116:119], v37, s[12:15], 0 offen     // 0000000050E0: E05C1000 80837425
	v_mfma_f32_16x16x32_fp8_fp8 v[172:175], a[52:53], v[156:157], v[172:175]// 0000000050E8: D3F300AC 0EB33934
	v_mfma_f32_16x16x32_fp8_fp8 v[172:175], a[54:55], v[158:159], v[172:175]// 0000000050F0: D3F300AC 0EB33D36
	v_mfma_f32_16x16x32_fp8_fp8 v[176:179], a[56:57], v[140:141], v[176:179]// 0000000050F8: D3F300B0 0EC31938
	v_mfma_f32_16x16x32_fp8_fp8 v[176:179], a[58:59], v[142:143], v[176:179]// 000000005100: D3F300B0 0EC31D3A
	buffer_load_dwordx4 a[120:123], v38, s[12:15], 0 offen     // 000000005108: E05C1000 80837826
	v_mfma_f32_16x16x32_fp8_fp8 v[180:183], a[56:57], v[156:157], v[180:183]// 000000005110: D3F300B4 0ED33938
	v_mfma_f32_16x16x32_fp8_fp8 v[180:183], a[58:59], v[158:159], v[180:183]// 000000005118: D3F300B4 0ED33D3A
	v_mfma_f32_16x16x32_fp8_fp8 v[184:187], a[60:61], v[140:141], v[184:187]// 000000005120: D3F300B8 0EE3193C
	v_mfma_f32_16x16x32_fp8_fp8 v[184:187], a[62:63], v[142:143], v[184:187]// 000000005128: D3F300B8 0EE31D3E
	buffer_load_dwordx4 a[124:127], v39, s[12:15], 0 offen     // 000000005130: E05C1000 80837C27
	v_mfma_f32_16x16x32_fp8_fp8 v[188:191], a[60:61], v[156:157], v[188:191]// 000000005138: D3F300BC 0EF3393C
	v_mfma_f32_16x16x32_fp8_fp8 v[188:191], a[62:63], v[158:159], v[188:191]// 000000005140: D3F300BC 0EF33D3E
	s_add_u32 s60, 0x200, s80                                  // 000000005148: 803C50FF 00000200
	s_cmp_lt_u32 s60, s81                                      // 000000005150: BF0A513C
	s_cselect_b32 s56, s56, 0                                  // 000000005154: 85388038
	s_cselect_b32 s78, s78, 0                                  // 000000005158: 854E804E
	s_cselect_b32 s79, s79, 0                                  // 00000000515C: 854F804F
	s_add_u32 s12, s56, s12                                    // 000000005160: 800C0C38
	s_addc_u32 s13, 0, s13                                     // 000000005164: 820D0D80
	s_add_u32 s16, s79, s16                                    // 000000005168: 8010104F
	s_addc_u32 s17, 0, s17                                     // 00000000516C: 82111180
	v_mul_f32_e32 v160, v22, v160                              // 000000005170: 0B414116
	v_mul_f32_e32 v161, v22, v161                              // 000000005174: 0B434316
	v_mul_f32_e32 v162, v22, v162                              // 000000005178: 0B454516
	v_mul_f32_e32 v163, v22, v163                              // 00000000517C: 0B474716
	v_mul_f32_dpp v160, v11, v160 row_newbcast:0 row_mask:0xf bank_mask:0xf// 000000005180: 0B4140FA FF01500B
	v_mul_f32_dpp v161, v11, v161 row_newbcast:1 row_mask:0xf bank_mask:0xf// 000000005188: 0B4342FA FF01510B
	v_mul_f32_dpp v162, v11, v162 row_newbcast:2 row_mask:0xf bank_mask:0xf// 000000005190: 0B4544FA FF01520B
	v_mul_f32_dpp v163, v11, v163 row_newbcast:3 row_mask:0xf bank_mask:0xf// 000000005198: 0B4746FA FF01530B
	v_mul_f32_e32 v160, v17, v160                              // 0000000051A0: 0B414111
	v_mul_f32_e32 v161, v17, v161                              // 0000000051A4: 0B434311
	v_mul_f32_e32 v162, v17, v162                              // 0000000051A8: 0B454511
	v_mul_f32_e32 v163, v17, v163                              // 0000000051AC: 0B474711
	v_mul_f32_e32 v164, v23, v164                              // 0000000051B0: 0B494917
	v_mul_f32_e32 v165, v23, v165                              // 0000000051B4: 0B4B4B17
	v_mul_f32_e32 v166, v23, v166                              // 0000000051B8: 0B4D4D17
	v_mul_f32_e32 v167, v23, v167                              // 0000000051BC: 0B4F4F17
	v_mul_f32_dpp v164, v11, v164 row_newbcast:0 row_mask:0xf bank_mask:0xf// 0000000051C0: 0B4948FA FF01500B
	v_mul_f32_dpp v165, v11, v165 row_newbcast:1 row_mask:0xf bank_mask:0xf// 0000000051C8: 0B4B4AFA FF01510B
	v_mul_f32_dpp v166, v11, v166 row_newbcast:2 row_mask:0xf bank_mask:0xf// 0000000051D0: 0B4D4CFA FF01520B
	v_mul_f32_dpp v167, v11, v167 row_newbcast:3 row_mask:0xf bank_mask:0xf// 0000000051D8: 0B4F4EFA FF01530B
	v_mul_f32_e32 v164, v18, v164                              // 0000000051E0: 0B494912
	v_mul_f32_e32 v165, v18, v165                              // 0000000051E4: 0B4B4B12
	v_mul_f32_e32 v166, v18, v166                              // 0000000051E8: 0B4D4D12
	v_mul_f32_e32 v167, v18, v167                              // 0000000051EC: 0B4F4F12
	v_mul_f32_e32 v168, v22, v168                              // 0000000051F0: 0B515116
	v_mul_f32_e32 v169, v22, v169                              // 0000000051F4: 0B535316
	v_mul_f32_e32 v170, v22, v170                              // 0000000051F8: 0B555516
	v_mul_f32_e32 v171, v22, v171                              // 0000000051FC: 0B575716
	v_mul_f32_dpp v168, v11, v168 row_newbcast:4 row_mask:0xf bank_mask:0xf// 000000005200: 0B5150FA FF01540B
	v_mul_f32_dpp v169, v11, v169 row_newbcast:5 row_mask:0xf bank_mask:0xf// 000000005208: 0B5352FA FF01550B
	v_mul_f32_dpp v170, v11, v170 row_newbcast:6 row_mask:0xf bank_mask:0xf// 000000005210: 0B5554FA FF01560B
	v_mul_f32_dpp v171, v11, v171 row_newbcast:7 row_mask:0xf bank_mask:0xf// 000000005218: 0B5756FA FF01570B
	v_mul_f32_e32 v168, v17, v168                              // 000000005220: 0B515111
	v_mul_f32_e32 v169, v17, v169                              // 000000005224: 0B535311
	v_mul_f32_e32 v170, v17, v170                              // 000000005228: 0B555511
	v_mul_f32_e32 v171, v17, v171                              // 00000000522C: 0B575711
	v_mul_f32_e32 v172, v23, v172                              // 000000005230: 0B595917
	v_mul_f32_e32 v173, v23, v173                              // 000000005234: 0B5B5B17
	v_mul_f32_e32 v174, v23, v174                              // 000000005238: 0B5D5D17
	v_mul_f32_e32 v175, v23, v175                              // 00000000523C: 0B5F5F17
	v_mul_f32_dpp v172, v11, v172 row_newbcast:4 row_mask:0xf bank_mask:0xf// 000000005240: 0B5958FA FF01540B
	v_mul_f32_dpp v173, v11, v173 row_newbcast:5 row_mask:0xf bank_mask:0xf// 000000005248: 0B5B5AFA FF01550B
	v_mul_f32_dpp v174, v11, v174 row_newbcast:6 row_mask:0xf bank_mask:0xf// 000000005250: 0B5D5CFA FF01560B
	v_mul_f32_dpp v175, v11, v175 row_newbcast:7 row_mask:0xf bank_mask:0xf// 000000005258: 0B5F5EFA FF01570B
	v_mul_f32_e32 v172, v18, v172                              // 000000005260: 0B595912
	v_mul_f32_e32 v173, v18, v173                              // 000000005264: 0B5B5B12
	v_mul_f32_e32 v174, v18, v174                              // 000000005268: 0B5D5D12
	v_mul_f32_e32 v175, v18, v175                              // 00000000526C: 0B5F5F12
	v_mul_f32_e32 v176, v22, v176                              // 000000005270: 0B616116
	v_mul_f32_e32 v177, v22, v177                              // 000000005274: 0B636316
	v_mul_f32_e32 v178, v22, v178                              // 000000005278: 0B656516
	v_mul_f32_e32 v179, v22, v179                              // 00000000527C: 0B676716
	v_mul_f32_dpp v176, v11, v176 row_newbcast:8 row_mask:0xf bank_mask:0xf// 000000005280: 0B6160FA FF01580B
	v_mul_f32_dpp v177, v11, v177 row_newbcast:9 row_mask:0xf bank_mask:0xf// 000000005288: 0B6362FA FF01590B
	v_mul_f32_dpp v178, v11, v178 row_newbcast:10 row_mask:0xf bank_mask:0xf// 000000005290: 0B6564FA FF015A0B
	v_mul_f32_dpp v179, v11, v179 row_newbcast:11 row_mask:0xf bank_mask:0xf// 000000005298: 0B6766FA FF015B0B
	v_mul_f32_e32 v176, v17, v176                              // 0000000052A0: 0B616111
	v_mul_f32_e32 v177, v17, v177                              // 0000000052A4: 0B636311
	v_mul_f32_e32 v178, v17, v178                              // 0000000052A8: 0B656511
	v_mul_f32_e32 v179, v17, v179                              // 0000000052AC: 0B676711
	v_mul_f32_e32 v180, v23, v180                              // 0000000052B0: 0B696917
	v_mul_f32_e32 v181, v23, v181                              // 0000000052B4: 0B6B6B17
	v_mul_f32_e32 v182, v23, v182                              // 0000000052B8: 0B6D6D17
	v_mul_f32_e32 v183, v23, v183                              // 0000000052BC: 0B6F6F17
	v_mul_f32_dpp v180, v11, v180 row_newbcast:8 row_mask:0xf bank_mask:0xf// 0000000052C0: 0B6968FA FF01580B
	v_mul_f32_dpp v181, v11, v181 row_newbcast:9 row_mask:0xf bank_mask:0xf// 0000000052C8: 0B6B6AFA FF01590B
	v_mul_f32_dpp v182, v11, v182 row_newbcast:10 row_mask:0xf bank_mask:0xf// 0000000052D0: 0B6D6CFA FF015A0B
	v_mul_f32_dpp v183, v11, v183 row_newbcast:11 row_mask:0xf bank_mask:0xf// 0000000052D8: 0B6F6EFA FF015B0B
	v_mul_f32_e32 v180, v18, v180                              // 0000000052E0: 0B696912
	v_mul_f32_e32 v181, v18, v181                              // 0000000052E4: 0B6B6B12
	v_mul_f32_e32 v182, v18, v182                              // 0000000052E8: 0B6D6D12
	v_mul_f32_e32 v183, v18, v183                              // 0000000052EC: 0B6F6F12
	v_mul_f32_e32 v184, v22, v184                              // 0000000052F0: 0B717116
	v_mul_f32_e32 v185, v22, v185                              // 0000000052F4: 0B737316
	v_mul_f32_e32 v186, v22, v186                              // 0000000052F8: 0B757516
	v_mul_f32_e32 v187, v22, v187                              // 0000000052FC: 0B777716
	v_mul_f32_dpp v184, v11, v184 row_newbcast:12 row_mask:0xf bank_mask:0xf// 000000005300: 0B7170FA FF015C0B
	v_mul_f32_dpp v185, v11, v185 row_newbcast:13 row_mask:0xf bank_mask:0xf// 000000005308: 0B7372FA FF015D0B
	v_mul_f32_dpp v186, v11, v186 row_newbcast:14 row_mask:0xf bank_mask:0xf// 000000005310: 0B7574FA FF015E0B
	v_mul_f32_dpp v187, v11, v187 row_newbcast:15 row_mask:0xf bank_mask:0xf// 000000005318: 0B7776FA FF015F0B
	v_mul_f32_e32 v184, v17, v184                              // 000000005320: 0B717111
	v_mul_f32_e32 v185, v17, v185                              // 000000005324: 0B737311
	v_mul_f32_e32 v186, v17, v186                              // 000000005328: 0B757511
	v_mul_f32_e32 v187, v17, v187                              // 00000000532C: 0B777711
	v_mul_f32_e32 v188, v23, v188                              // 000000005330: 0B797917
	v_mul_f32_e32 v189, v23, v189                              // 000000005334: 0B7B7B17
	v_mul_f32_e32 v190, v23, v190                              // 000000005338: 0B7D7D17
	v_mul_f32_e32 v191, v23, v191                              // 00000000533C: 0B7F7F17
	v_mul_f32_dpp v188, v11, v188 row_newbcast:12 row_mask:0xf bank_mask:0xf// 000000005340: 0B7978FA FF015C0B
	v_mul_f32_dpp v189, v11, v189 row_newbcast:13 row_mask:0xf bank_mask:0xf// 000000005348: 0B7B7AFA FF015D0B
	v_mul_f32_dpp v190, v11, v190 row_newbcast:14 row_mask:0xf bank_mask:0xf// 000000005350: 0B7D7CFA FF015E0B
	v_mul_f32_dpp v191, v11, v191 row_newbcast:15 row_mask:0xf bank_mask:0xf// 000000005358: 0B7F7EFA FF015F0B
	v_mul_f32_e32 v188, v18, v188                              // 000000005360: 0B797912
	v_mul_f32_e32 v189, v18, v189                              // 000000005364: 0B7B7B12
	v_mul_f32_e32 v190, v18, v190                              // 000000005368: 0B7D7D12
	v_mul_f32_e32 v191, v18, v191                              // 00000000536C: 0B7F7F12
	v_cmp_u_f32_e64 s[48:49], v160, v160                       // 000000005370: D0480030 000341A0
	v_add3_u32 v40, v160, v43, 1                               // 000000005378: D1FF0028 020657A0
	v_cndmask_b32_e64 v46, v40, v42, s[48:49]                  // 000000005380: D100002E 00C25528
	v_cmp_u_f32_e64 s[48:49], v161, v161                       // 000000005388: D0480030 000343A1
	v_add3_u32 v40, v161, v43, 1                               // 000000005390: D1FF0028 020657A1
	v_cndmask_b32_e64 v47, v40, v42, s[48:49]                  // 000000005398: D100002F 00C25528
	v_perm_b32 v160, v47, v46, s52                             // 0000000053A0: D1ED00A0 00D25D2F
	v_cmp_u_f32_e64 s[48:49], v162, v162                       // 0000000053A8: D0480030 000345A2
	v_add3_u32 v40, v162, v43, 1                               // 0000000053B0: D1FF0028 020657A2
	v_cndmask_b32_e64 v46, v40, v42, s[48:49]                  // 0000000053B8: D100002E 00C25528
	v_cmp_u_f32_e64 s[48:49], v163, v163                       // 0000000053C0: D0480030 000347A3
	v_add3_u32 v40, v163, v43, 1                               // 0000000053C8: D1FF0028 020657A3
	v_cndmask_b32_e64 v47, v40, v42, s[48:49]                  // 0000000053D0: D100002F 00C25528
	v_perm_b32 v161, v47, v46, s52                             // 0000000053D8: D1ED00A1 00D25D2F
	v_cmp_u_f32_e64 s[48:49], v164, v164                       // 0000000053E0: D0480030 000349A4
	v_add3_u32 v40, v164, v43, 1                               // 0000000053E8: D1FF0028 020657A4
	v_cndmask_b32_e64 v46, v40, v42, s[48:49]                  // 0000000053F0: D100002E 00C25528
	v_cmp_u_f32_e64 s[48:49], v165, v165                       // 0000000053F8: D0480030 00034BA5
	v_add3_u32 v40, v165, v43, 1                               // 000000005400: D1FF0028 020657A5
	v_cndmask_b32_e64 v47, v40, v42, s[48:49]                  // 000000005408: D100002F 00C25528
	v_perm_b32 v162, v47, v46, s52                             // 000000005410: D1ED00A2 00D25D2F
	v_cmp_u_f32_e64 s[48:49], v166, v166                       // 000000005418: D0480030 00034DA6
	v_add3_u32 v40, v166, v43, 1                               // 000000005420: D1FF0028 020657A6
	v_cndmask_b32_e64 v46, v40, v42, s[48:49]                  // 000000005428: D100002E 00C25528
	v_cmp_u_f32_e64 s[48:49], v167, v167                       // 000000005430: D0480030 00034FA7
	v_add3_u32 v40, v167, v43, 1                               // 000000005438: D1FF0028 020657A7
	v_cndmask_b32_e64 v47, v40, v42, s[48:49]                  // 000000005440: D100002F 00C25528
	v_perm_b32 v163, v47, v46, s52                             // 000000005448: D1ED00A3 00D25D2F
	v_cmp_u_f32_e64 s[48:49], v168, v168                       // 000000005450: D0480030 000351A8
	v_add3_u32 v40, v168, v43, 1                               // 000000005458: D1FF0028 020657A8
	v_cndmask_b32_e64 v46, v40, v42, s[48:49]                  // 000000005460: D100002E 00C25528
	v_cmp_u_f32_e64 s[48:49], v169, v169                       // 000000005468: D0480030 000353A9
	v_add3_u32 v40, v169, v43, 1                               // 000000005470: D1FF0028 020657A9
	v_cndmask_b32_e64 v47, v40, v42, s[48:49]                  // 000000005478: D100002F 00C25528
	v_perm_b32 v164, v47, v46, s52                             // 000000005480: D1ED00A4 00D25D2F
	v_cmp_u_f32_e64 s[48:49], v170, v170                       // 000000005488: D0480030 000355AA
	v_add3_u32 v40, v170, v43, 1                               // 000000005490: D1FF0028 020657AA
	v_cndmask_b32_e64 v46, v40, v42, s[48:49]                  // 000000005498: D100002E 00C25528
	v_cmp_u_f32_e64 s[48:49], v171, v171                       // 0000000054A0: D0480030 000357AB
	v_add3_u32 v40, v171, v43, 1                               // 0000000054A8: D1FF0028 020657AB
	v_cndmask_b32_e64 v47, v40, v42, s[48:49]                  // 0000000054B0: D100002F 00C25528
	v_perm_b32 v165, v47, v46, s52                             // 0000000054B8: D1ED00A5 00D25D2F
	v_cmp_u_f32_e64 s[48:49], v172, v172                       // 0000000054C0: D0480030 000359AC
	v_add3_u32 v40, v172, v43, 1                               // 0000000054C8: D1FF0028 020657AC
	v_cndmask_b32_e64 v46, v40, v42, s[48:49]                  // 0000000054D0: D100002E 00C25528
	v_cmp_u_f32_e64 s[48:49], v173, v173                       // 0000000054D8: D0480030 00035BAD
	v_add3_u32 v40, v173, v43, 1                               // 0000000054E0: D1FF0028 020657AD
	v_cndmask_b32_e64 v47, v40, v42, s[48:49]                  // 0000000054E8: D100002F 00C25528
	v_perm_b32 v166, v47, v46, s52                             // 0000000054F0: D1ED00A6 00D25D2F
	v_cmp_u_f32_e64 s[48:49], v174, v174                       // 0000000054F8: D0480030 00035DAE
	v_add3_u32 v40, v174, v43, 1                               // 000000005500: D1FF0028 020657AE
	v_cndmask_b32_e64 v46, v40, v42, s[48:49]                  // 000000005508: D100002E 00C25528
	v_cmp_u_f32_e64 s[48:49], v175, v175                       // 000000005510: D0480030 00035FAF
	v_add3_u32 v40, v175, v43, 1                               // 000000005518: D1FF0028 020657AF
	v_cndmask_b32_e64 v47, v40, v42, s[48:49]                  // 000000005520: D100002F 00C25528
	v_perm_b32 v167, v47, v46, s52                             // 000000005528: D1ED00A7 00D25D2F
	v_cmp_u_f32_e64 s[48:49], v176, v176                       // 000000005530: D0480030 000361B0
	v_add3_u32 v40, v176, v43, 1                               // 000000005538: D1FF0028 020657B0
	v_cndmask_b32_e64 v46, v40, v42, s[48:49]                  // 000000005540: D100002E 00C25528
	v_cmp_u_f32_e64 s[48:49], v177, v177                       // 000000005548: D0480030 000363B1
	v_add3_u32 v40, v177, v43, 1                               // 000000005550: D1FF0028 020657B1
	v_cndmask_b32_e64 v47, v40, v42, s[48:49]                  // 000000005558: D100002F 00C25528
	v_perm_b32 v168, v47, v46, s52                             // 000000005560: D1ED00A8 00D25D2F
	v_cmp_u_f32_e64 s[48:49], v178, v178                       // 000000005568: D0480030 000365B2
	v_add3_u32 v40, v178, v43, 1                               // 000000005570: D1FF0028 020657B2
	v_cndmask_b32_e64 v46, v40, v42, s[48:49]                  // 000000005578: D100002E 00C25528
	v_cmp_u_f32_e64 s[48:49], v179, v179                       // 000000005580: D0480030 000367B3
	v_add3_u32 v40, v179, v43, 1                               // 000000005588: D1FF0028 020657B3
	v_cndmask_b32_e64 v47, v40, v42, s[48:49]                  // 000000005590: D100002F 00C25528
	v_perm_b32 v169, v47, v46, s52                             // 000000005598: D1ED00A9 00D25D2F
	v_cmp_u_f32_e64 s[48:49], v180, v180                       // 0000000055A0: D0480030 000369B4
	v_add3_u32 v40, v180, v43, 1                               // 0000000055A8: D1FF0028 020657B4
	v_cndmask_b32_e64 v46, v40, v42, s[48:49]                  // 0000000055B0: D100002E 00C25528
	v_cmp_u_f32_e64 s[48:49], v181, v181                       // 0000000055B8: D0480030 00036BB5
	v_add3_u32 v40, v181, v43, 1                               // 0000000055C0: D1FF0028 020657B5
	v_cndmask_b32_e64 v47, v40, v42, s[48:49]                  // 0000000055C8: D100002F 00C25528
	v_perm_b32 v170, v47, v46, s52                             // 0000000055D0: D1ED00AA 00D25D2F
	v_cmp_u_f32_e64 s[48:49], v182, v182                       // 0000000055D8: D0480030 00036DB6
	v_add3_u32 v40, v182, v43, 1                               // 0000000055E0: D1FF0028 020657B6
	v_cndmask_b32_e64 v46, v40, v42, s[48:49]                  // 0000000055E8: D100002E 00C25528
	v_cmp_u_f32_e64 s[48:49], v183, v183                       // 0000000055F0: D0480030 00036FB7
	v_add3_u32 v40, v183, v43, 1                               // 0000000055F8: D1FF0028 020657B7
	v_cndmask_b32_e64 v47, v40, v42, s[48:49]                  // 000000005600: D100002F 00C25528
	v_perm_b32 v171, v47, v46, s52                             // 000000005608: D1ED00AB 00D25D2F
	v_cmp_u_f32_e64 s[48:49], v184, v184                       // 000000005610: D0480030 000371B8
	v_add3_u32 v40, v184, v43, 1                               // 000000005618: D1FF0028 020657B8
	v_cndmask_b32_e64 v46, v40, v42, s[48:49]                  // 000000005620: D100002E 00C25528
	v_cmp_u_f32_e64 s[48:49], v185, v185                       // 000000005628: D0480030 000373B9
	v_add3_u32 v40, v185, v43, 1                               // 000000005630: D1FF0028 020657B9
	v_cndmask_b32_e64 v47, v40, v42, s[48:49]                  // 000000005638: D100002F 00C25528
	v_perm_b32 v172, v47, v46, s52                             // 000000005640: D1ED00AC 00D25D2F
	v_cmp_u_f32_e64 s[48:49], v186, v186                       // 000000005648: D0480030 000375BA
	v_add3_u32 v40, v186, v43, 1                               // 000000005650: D1FF0028 020657BA
	v_cndmask_b32_e64 v46, v40, v42, s[48:49]                  // 000000005658: D100002E 00C25528
	v_cmp_u_f32_e64 s[48:49], v187, v187                       // 000000005660: D0480030 000377BB
	v_add3_u32 v40, v187, v43, 1                               // 000000005668: D1FF0028 020657BB
	v_cndmask_b32_e64 v47, v40, v42, s[48:49]                  // 000000005670: D100002F 00C25528
	v_perm_b32 v173, v47, v46, s52                             // 000000005678: D1ED00AD 00D25D2F
	v_cmp_u_f32_e64 s[48:49], v188, v188                       // 000000005680: D0480030 000379BC
	v_add3_u32 v40, v188, v43, 1                               // 000000005688: D1FF0028 020657BC
	v_cndmask_b32_e64 v46, v40, v42, s[48:49]                  // 000000005690: D100002E 00C25528
	v_cmp_u_f32_e64 s[48:49], v189, v189                       // 000000005698: D0480030 00037BBD
	v_add3_u32 v40, v189, v43, 1                               // 0000000056A0: D1FF0028 020657BD
	v_cndmask_b32_e64 v47, v40, v42, s[48:49]                  // 0000000056A8: D100002F 00C25528
	v_perm_b32 v174, v47, v46, s52                             // 0000000056B0: D1ED00AE 00D25D2F
	v_cmp_u_f32_e64 s[48:49], v190, v190                       // 0000000056B8: D0480030 00037DBE
	v_add3_u32 v40, v190, v43, 1                               // 0000000056C0: D1FF0028 020657BE
	v_cndmask_b32_e64 v46, v40, v42, s[48:49]                  // 0000000056C8: D100002E 00C25528
	v_cmp_u_f32_e64 s[48:49], v191, v191                       // 0000000056D0: D0480030 00037FBF
	v_add3_u32 v40, v191, v43, 1                               // 0000000056D8: D1FF0028 020657BF
	v_cndmask_b32_e64 v47, v40, v42, s[48:49]                  // 0000000056E0: D100002F 00C25528
	v_perm_b32 v175, v47, v46, s52                             // 0000000056E8: D1ED00AF 00D25D2F
	ds_write_b64 v3, v[160:161] offset:26880                   // 0000000056F0: D89A6900 0000A003
	ds_write_b64 v3, v[162:163] offset:35584                   // 0000000056F8: D89A8B00 0000A203
	ds_write_b64 v3, v[164:165] offset:29056                   // 000000005700: D89A7180 0000A403
	ds_write_b64 v3, v[166:167] offset:37760                   // 000000005708: D89A9380 0000A603
	ds_write_b64 v3, v[168:169] offset:31232                   // 000000005710: D89A7A00 0000A803
	ds_write_b64 v3, v[170:171] offset:39936                   // 000000005718: D89A9C00 0000AA03
	ds_write_b64 v3, v[172:173] offset:33408                   // 000000005720: D89A8280 0000AC03
	ds_write_b64 v3, v[174:175] offset:42112                   // 000000005728: D89AA480 0000AE03
	s_waitcnt lgkmcnt(0)                                       // 000000005730: BF8CC07F
	s_barrier                                                  // 000000005734: BF8A0000
	ds_read_b32 v64, v4 offset:26880                           // 000000005738: D86C6900 40000004
	ds_read_b32 v65, v4 offset:31232                           // 000000005740: D86C7A00 41000004
	ds_read_b32 v66, v4 offset:26912                           // 000000005748: D86C6920 42000004
	ds_read_b32 v67, v4 offset:31264                           // 000000005750: D86C7A20 43000004
	ds_read_b32 v68, v4 offset:26944                           // 000000005758: D86C6940 44000004
	ds_read_b32 v69, v4 offset:31296                           // 000000005760: D86C7A40 45000004
	ds_read_b32 v70, v4 offset:26976                           // 000000005768: D86C6960 46000004
	ds_read_b32 v71, v4 offset:31328                           // 000000005770: D86C7A60 47000004
	ds_read_b32 v72, v4 offset:35584                           // 000000005778: D86C8B00 48000004
	ds_read_b32 v73, v4 offset:39936                           // 000000005780: D86C9C00 49000004
	ds_read_b32 v74, v4 offset:35616                           // 000000005788: D86C8B20 4A000004
	ds_read_b32 v75, v4 offset:39968                           // 000000005790: D86C9C20 4B000004
	ds_read_b32 v76, v4 offset:35648                           // 000000005798: D86C8B40 4C000004
	ds_read_b32 v77, v4 offset:40000                           // 0000000057A0: D86C9C40 4D000004
	ds_read_b32 v78, v4 offset:35680                           // 0000000057A8: D86C8B60 4E000004
	ds_read_b32 v79, v4 offset:40032                           // 0000000057B0: D86C9C60 4F000004
	s_waitcnt lgkmcnt(0)                                       // 0000000057B8: BF8CC07F
	s_mov_b64 exec, s[20:21]                                   // 0000000057BC: BEFE0114
	global_atomic_pk_add_bf16 v80, v64, s[8:9]                 // 0000000057C0: DD488000 00084050
	s_mov_b64 exec, s[36:37]                                   // 0000000057C8: BEFE0124
	s_mov_b64 exec, s[20:21]                                   // 0000000057CC: BEFE0114
	global_atomic_pk_add_bf16 v80, v65, s[8:9] offset:256      // 0000000057D0: DD488100 00084150
	s_mov_b64 exec, s[36:37]                                   // 0000000057D8: BEFE0124
	s_mov_b64 exec, s[22:23]                                   // 0000000057DC: BEFE0116
	global_atomic_pk_add_bf16 v82, v66, s[8:9]                 // 0000000057E0: DD488000 00084252
	s_mov_b64 exec, s[36:37]                                   // 0000000057E8: BEFE0124
	s_mov_b64 exec, s[22:23]                                   // 0000000057EC: BEFE0116
	global_atomic_pk_add_bf16 v82, v67, s[8:9] offset:256      // 0000000057F0: DD488100 00084352
	s_mov_b64 exec, s[36:37]                                   // 0000000057F8: BEFE0124
	s_mov_b64 exec, s[24:25]                                   // 0000000057FC: BEFE0118
	global_atomic_pk_add_bf16 v84, v68, s[8:9]                 // 000000005800: DD488000 00084454
	s_mov_b64 exec, s[36:37]                                   // 000000005808: BEFE0124
	s_mov_b64 exec, s[24:25]                                   // 00000000580C: BEFE0118
	global_atomic_pk_add_bf16 v84, v69, s[8:9] offset:256      // 000000005810: DD488100 00084554
	s_mov_b64 exec, s[36:37]                                   // 000000005818: BEFE0124
	s_mov_b64 exec, s[26:27]                                   // 00000000581C: BEFE011A
	global_atomic_pk_add_bf16 v86, v70, s[8:9]                 // 000000005820: DD488000 00084656
	s_mov_b64 exec, s[36:37]                                   // 000000005828: BEFE0124
	s_mov_b64 exec, s[26:27]                                   // 00000000582C: BEFE011A
	global_atomic_pk_add_bf16 v86, v71, s[8:9] offset:256      // 000000005830: DD488100 00084756
	s_mov_b64 exec, s[36:37]                                   // 000000005838: BEFE0124
	s_mov_b64 exec, s[28:29]                                   // 00000000583C: BEFE011C
	global_atomic_pk_add_bf16 v88, v72, s[8:9]                 // 000000005840: DD488000 00084858
	s_mov_b64 exec, s[36:37]                                   // 000000005848: BEFE0124
	s_mov_b64 exec, s[28:29]                                   // 00000000584C: BEFE011C
	global_atomic_pk_add_bf16 v88, v73, s[8:9] offset:256      // 000000005850: DD488100 00084958
	s_mov_b64 exec, s[36:37]                                   // 000000005858: BEFE0124
	s_mov_b64 exec, s[30:31]                                   // 00000000585C: BEFE011E
	global_atomic_pk_add_bf16 v90, v74, s[8:9]                 // 000000005860: DD488000 00084A5A
	s_mov_b64 exec, s[36:37]                                   // 000000005868: BEFE0124
	s_mov_b64 exec, s[30:31]                                   // 00000000586C: BEFE011E
	global_atomic_pk_add_bf16 v90, v75, s[8:9] offset:256      // 000000005870: DD488100 00084B5A
	s_mov_b64 exec, s[36:37]                                   // 000000005878: BEFE0124
	s_mov_b64 exec, s[32:33]                                   // 00000000587C: BEFE0120
	global_atomic_pk_add_bf16 v92, v76, s[8:9]                 // 000000005880: DD488000 00084C5C
	s_mov_b64 exec, s[36:37]                                   // 000000005888: BEFE0124
	s_mov_b64 exec, s[32:33]                                   // 00000000588C: BEFE0120
	global_atomic_pk_add_bf16 v92, v77, s[8:9] offset:256      // 000000005890: DD488100 00084D5C
	s_mov_b64 exec, s[36:37]                                   // 000000005898: BEFE0124
	s_mov_b64 exec, s[34:35]                                   // 00000000589C: BEFE0122
	global_atomic_pk_add_bf16 v94, v78, s[8:9]                 // 0000000058A0: DD488000 00084E5E
	s_mov_b64 exec, s[36:37]                                   // 0000000058A8: BEFE0124
	s_mov_b64 exec, s[34:35]                                   // 0000000058AC: BEFE0122
	global_atomic_pk_add_bf16 v94, v79, s[8:9] offset:256      // 0000000058B0: DD488100 00084F5E
	s_mov_b64 exec, s[36:37]                                   // 0000000058B8: BEFE0124
	s_add_u32 s8, s59, s8                                      // 0000000058BC: 8008083B
	s_addc_u32 s9, 0, s9                                       // 0000000058C0: 82090980
	s_addk_i32 s80, 0x100                                      // 0000000058C4: B7500100
	s_cmp_lt_i32 s80, s81                                      // 0000000058C8: BF045150
	s_cbranch_scc0 label_0E04                                  // 0000000058CC: BF840290
	s_waitcnt vmcnt(29)                                        // 0000000058D0: BF8C4F7D
	s_barrier                                                  // 0000000058D4: BF8A0000
	v_mfma_f32_16x16x32_fp8_fp8 v[192:195], a[64:65], v[128:129], 0// 0000000058D8: D3F300C0 0A030140
	v_mfma_f32_16x16x32_fp8_fp8 v[192:195], a[66:67], v[130:131], v[192:195]// 0000000058E0: D3F300C0 0F030542
	buffer_load_dwordx4 a[0:3], v36, s[12:15], 0 offen         // 0000000058E8: E05C1000 80830024
	v_mfma_f32_16x16x32_fp8_fp8 v[196:199], a[64:65], v[144:145], 0// 0000000058F0: D3F300C4 0A032140
	v_mfma_f32_16x16x32_fp8_fp8 v[196:199], a[66:67], v[146:147], v[196:199]// 0000000058F8: D3F300C4 0F132542
	v_mfma_f32_16x16x32_fp8_fp8 v[200:203], a[68:69], v[128:129], 0// 000000005900: D3F300C8 0A030144
	v_mfma_f32_16x16x32_fp8_fp8 v[200:203], a[70:71], v[130:131], v[200:203]// 000000005908: D3F300C8 0F230546
	buffer_load_dwordx4 a[4:7], v37, s[12:15], 0 offen         // 000000005910: E05C1000 80830425
	v_mfma_f32_16x16x32_fp8_fp8 v[204:207], a[68:69], v[144:145], 0// 000000005918: D3F300CC 0A032144
	v_mfma_f32_16x16x32_fp8_fp8 v[204:207], a[70:71], v[146:147], v[204:207]// 000000005920: D3F300CC 0F332546
	v_mfma_f32_16x16x32_fp8_fp8 v[208:211], a[72:73], v[128:129], 0// 000000005928: D3F300D0 0A030148
	v_mfma_f32_16x16x32_fp8_fp8 v[208:211], a[74:75], v[130:131], v[208:211]// 000000005930: D3F300D0 0F43054A
	buffer_load_dwordx4 a[8:11], v38, s[12:15], 0 offen        // 000000005938: E05C1000 80830826
	v_mfma_f32_16x16x32_fp8_fp8 v[212:215], a[72:73], v[144:145], 0// 000000005940: D3F300D4 0A032148
	v_mfma_f32_16x16x32_fp8_fp8 v[212:215], a[74:75], v[146:147], v[212:215]// 000000005948: D3F300D4 0F53254A
	v_mfma_f32_16x16x32_fp8_fp8 v[216:219], a[76:77], v[128:129], 0// 000000005950: D3F300D8 0A03014C
	v_mfma_f32_16x16x32_fp8_fp8 v[216:219], a[78:79], v[130:131], v[216:219]// 000000005958: D3F300D8 0F63054E
	buffer_load_dwordx4 a[12:15], v39, s[12:15], 0 offen       // 000000005960: E05C1000 80830C27
	s_add_u32 s12, s78, s12                                    // 000000005968: 800C0C4E
	s_addc_u32 s13, 0, s13                                     // 00000000596C: 820D0D80
	v_mfma_f32_16x16x32_fp8_fp8 v[220:223], a[76:77], v[144:145], 0// 000000005970: D3F300DC 0A03214C
	v_mfma_f32_16x16x32_fp8_fp8 v[220:223], a[78:79], v[146:147], v[220:223]// 000000005978: D3F300DC 0F73254E
	s_waitcnt vmcnt(29)                                        // 000000005980: BF8C4F7D
	v_mfma_f32_16x16x32_fp8_fp8 v[192:195], a[80:81], v[132:133], v[192:195]// 000000005984: D3F300C0 0F030950
	v_mfma_f32_16x16x32_fp8_fp8 v[192:195], a[82:83], v[134:135], v[192:195]// 00000000598C: D3F300C0 0F030D52
	buffer_load_dwordx4 a[16:19], v36, s[12:15], 0 offen       // 000000005994: E05C1000 80831024
	v_mfma_f32_16x16x32_fp8_fp8 v[196:199], a[80:81], v[148:149], v[196:199]// 00000000599C: D3F300C4 0F132950
	v_mfma_f32_16x16x32_fp8_fp8 v[196:199], a[82:83], v[150:151], v[196:199]// 0000000059A4: D3F300C4 0F132D52
	v_mfma_f32_16x16x32_fp8_fp8 v[200:203], a[84:85], v[132:133], v[200:203]// 0000000059AC: D3F300C8 0F230954
	v_mfma_f32_16x16x32_fp8_fp8 v[200:203], a[86:87], v[134:135], v[200:203]// 0000000059B4: D3F300C8 0F230D56
	buffer_load_dwordx4 a[20:23], v37, s[12:15], 0 offen       // 0000000059BC: E05C1000 80831425
	v_mfma_f32_16x16x32_fp8_fp8 v[204:207], a[84:85], v[148:149], v[204:207]// 0000000059C4: D3F300CC 0F332954
	v_mfma_f32_16x16x32_fp8_fp8 v[204:207], a[86:87], v[150:151], v[204:207]// 0000000059CC: D3F300CC 0F332D56
	v_mfma_f32_16x16x32_fp8_fp8 v[208:211], a[88:89], v[132:133], v[208:211]// 0000000059D4: D3F300D0 0F430958
	v_mfma_f32_16x16x32_fp8_fp8 v[208:211], a[90:91], v[134:135], v[208:211]// 0000000059DC: D3F300D0 0F430D5A
	buffer_load_dwordx4 a[24:27], v38, s[12:15], 0 offen       // 0000000059E4: E05C1000 80831826
	v_mfma_f32_16x16x32_fp8_fp8 v[212:215], a[88:89], v[148:149], v[212:215]// 0000000059EC: D3F300D4 0F532958
	v_mfma_f32_16x16x32_fp8_fp8 v[212:215], a[90:91], v[150:151], v[212:215]// 0000000059F4: D3F300D4 0F532D5A
	v_mfma_f32_16x16x32_fp8_fp8 v[216:219], a[92:93], v[132:133], v[216:219]// 0000000059FC: D3F300D8 0F63095C
	v_mfma_f32_16x16x32_fp8_fp8 v[216:219], a[94:95], v[134:135], v[216:219]// 000000005A04: D3F300D8 0F630D5E
	buffer_load_dwordx4 a[28:31], v39, s[12:15], 0 offen       // 000000005A0C: E05C1000 80831C27
	s_add_u32 s12, s78, s12                                    // 000000005A14: 800C0C4E
	s_addc_u32 s13, 0, s13                                     // 000000005A18: 820D0D80
	v_mfma_f32_16x16x32_fp8_fp8 v[220:223], a[92:93], v[148:149], v[220:223]// 000000005A1C: D3F300DC 0F73295C
	v_mfma_f32_16x16x32_fp8_fp8 v[220:223], a[94:95], v[150:151], v[220:223]// 000000005A24: D3F300DC 0F732D5E
	s_waitcnt vmcnt(29)                                        // 000000005A2C: BF8C4F7D
	v_mfma_f32_16x16x32_fp8_fp8 v[192:195], a[96:97], v[136:137], v[192:195]// 000000005A30: D3F300C0 0F031160
	v_mfma_f32_16x16x32_fp8_fp8 v[192:195], a[98:99], v[138:139], v[192:195]// 000000005A38: D3F300C0 0F031562
	buffer_load_dwordx4 a[32:35], v36, s[12:15], 0 offen       // 000000005A40: E05C1000 80832024
	v_mfma_f32_16x16x32_fp8_fp8 v[196:199], a[96:97], v[152:153], v[196:199]// 000000005A48: D3F300C4 0F133160
	v_mfma_f32_16x16x32_fp8_fp8 v[196:199], a[98:99], v[154:155], v[196:199]// 000000005A50: D3F300C4 0F133562
	v_mfma_f32_16x16x32_fp8_fp8 v[200:203], a[100:101], v[136:137], v[200:203]// 000000005A58: D3F300C8 0F231164
	v_mfma_f32_16x16x32_fp8_fp8 v[200:203], a[102:103], v[138:139], v[200:203]// 000000005A60: D3F300C8 0F231566
	buffer_load_dwordx4 a[36:39], v37, s[12:15], 0 offen       // 000000005A68: E05C1000 80832425
	v_mfma_f32_16x16x32_fp8_fp8 v[204:207], a[100:101], v[152:153], v[204:207]// 000000005A70: D3F300CC 0F333164
	v_mfma_f32_16x16x32_fp8_fp8 v[204:207], a[102:103], v[154:155], v[204:207]// 000000005A78: D3F300CC 0F333566
	v_mfma_f32_16x16x32_fp8_fp8 v[208:211], a[104:105], v[136:137], v[208:211]// 000000005A80: D3F300D0 0F431168
	v_mfma_f32_16x16x32_fp8_fp8 v[208:211], a[106:107], v[138:139], v[208:211]// 000000005A88: D3F300D0 0F43156A
	buffer_load_dwordx4 a[40:43], v38, s[12:15], 0 offen       // 000000005A90: E05C1000 80832826
	v_mfma_f32_16x16x32_fp8_fp8 v[212:215], a[104:105], v[152:153], v[212:215]// 000000005A98: D3F300D4 0F533168
	v_mfma_f32_16x16x32_fp8_fp8 v[212:215], a[106:107], v[154:155], v[212:215]// 000000005AA0: D3F300D4 0F53356A
	v_mfma_f32_16x16x32_fp8_fp8 v[216:219], a[108:109], v[136:137], v[216:219]// 000000005AA8: D3F300D8 0F63116C
	v_mfma_f32_16x16x32_fp8_fp8 v[216:219], a[110:111], v[138:139], v[216:219]// 000000005AB0: D3F300D8 0F63156E
	buffer_load_dwordx4 a[44:47], v39, s[12:15], 0 offen       // 000000005AB8: E05C1000 80832C27
	s_add_u32 s12, s78, s12                                    // 000000005AC0: 800C0C4E
	s_addc_u32 s13, 0, s13                                     // 000000005AC4: 820D0D80
	v_mfma_f32_16x16x32_fp8_fp8 v[220:223], a[108:109], v[152:153], v[220:223]// 000000005AC8: D3F300DC 0F73316C
	v_mfma_f32_16x16x32_fp8_fp8 v[220:223], a[110:111], v[154:155], v[220:223]// 000000005AD0: D3F300DC 0F73356E
	s_waitcnt vmcnt(28)                                        // 000000005AD8: BF8C4F7C
	v_mfma_f32_16x16x32_fp8_fp8 v[192:195], a[112:113], v[140:141], v[192:195]// 000000005ADC: D3F300C0 0F031970
	v_mfma_f32_16x16x32_fp8_fp8 v[192:195], a[114:115], v[142:143], v[192:195]// 000000005AE4: D3F300C0 0F031D72
	buffer_load_dwordx4 a[48:51], v36, s[12:15], 0 offen       // 000000005AEC: E05C1000 80833024
	v_mfma_f32_16x16x32_fp8_fp8 v[196:199], a[112:113], v[156:157], v[196:199]// 000000005AF4: D3F300C4 0F133970
	v_mfma_f32_16x16x32_fp8_fp8 v[196:199], a[114:115], v[158:159], v[196:199]// 000000005AFC: D3F300C4 0F133D72
	buffer_load_dword v11, v5, s[16:19], 0 offen               // 000000005B04: E0501000 80040B05
	v_mfma_f32_16x16x32_fp8_fp8 v[200:203], a[116:117], v[140:141], v[200:203]// 000000005B0C: D3F300C8 0F231974
	v_mfma_f32_16x16x32_fp8_fp8 v[200:203], a[118:119], v[142:143], v[200:203]// 000000005B14: D3F300C8 0F231D76
	buffer_load_dwordx4 a[52:55], v37, s[12:15], 0 offen       // 000000005B1C: E05C1000 80833425
	v_mfma_f32_16x16x32_fp8_fp8 v[204:207], a[116:117], v[156:157], v[204:207]// 000000005B24: D3F300CC 0F333974
	v_mfma_f32_16x16x32_fp8_fp8 v[204:207], a[118:119], v[158:159], v[204:207]// 000000005B2C: D3F300CC 0F333D76
	v_mfma_f32_16x16x32_fp8_fp8 v[208:211], a[120:121], v[140:141], v[208:211]// 000000005B34: D3F300D0 0F431978
	v_mfma_f32_16x16x32_fp8_fp8 v[208:211], a[122:123], v[142:143], v[208:211]// 000000005B3C: D3F300D0 0F431D7A
	buffer_load_dwordx4 a[56:59], v38, s[12:15], 0 offen       // 000000005B44: E05C1000 80833826
	v_mfma_f32_16x16x32_fp8_fp8 v[212:215], a[120:121], v[156:157], v[212:215]// 000000005B4C: D3F300D4 0F533978
	v_mfma_f32_16x16x32_fp8_fp8 v[212:215], a[122:123], v[158:159], v[212:215]// 000000005B54: D3F300D4 0F533D7A
	v_mfma_f32_16x16x32_fp8_fp8 v[216:219], a[124:125], v[140:141], v[216:219]// 000000005B5C: D3F300D8 0F63197C
	v_mfma_f32_16x16x32_fp8_fp8 v[216:219], a[126:127], v[142:143], v[216:219]// 000000005B64: D3F300D8 0F631D7E
	buffer_load_dwordx4 a[60:63], v39, s[12:15], 0 offen       // 000000005B6C: E05C1000 80833C27
	v_mfma_f32_16x16x32_fp8_fp8 v[220:223], a[124:125], v[156:157], v[220:223]// 000000005B74: D3F300DC 0F73397C
	v_mfma_f32_16x16x32_fp8_fp8 v[220:223], a[126:127], v[158:159], v[220:223]// 000000005B7C: D3F300DC 0F733D7E
	s_add_u32 s60, 0x200, s80                                  // 000000005B84: 803C50FF 00000200
	s_cmp_lt_u32 s60, s81                                      // 000000005B8C: BF0A513C
	s_cselect_b32 s56, s56, 0                                  // 000000005B90: 85388038
	s_cselect_b32 s78, s78, 0                                  // 000000005B94: 854E804E
	s_cselect_b32 s79, s79, 0                                  // 000000005B98: 854F804F
	s_add_u32 s12, s56, s12                                    // 000000005B9C: 800C0C38
	s_addc_u32 s13, 0, s13                                     // 000000005BA0: 820D0D80
	s_add_u32 s16, s79, s16                                    // 000000005BA4: 8010104F
	s_addc_u32 s17, 0, s17                                     // 000000005BA8: 82111180
	v_mul_f32_e32 v192, v22, v192                              // 000000005BAC: 0B818116
	v_mul_f32_e32 v193, v22, v193                              // 000000005BB0: 0B838316
	v_mul_f32_e32 v194, v22, v194                              // 000000005BB4: 0B858516
	v_mul_f32_e32 v195, v22, v195                              // 000000005BB8: 0B878716
	v_mul_f32_dpp v192, v12, v192 row_newbcast:0 row_mask:0xf bank_mask:0xf// 000000005BBC: 0B8180FA FF01500C
	v_mul_f32_dpp v193, v12, v193 row_newbcast:1 row_mask:0xf bank_mask:0xf// 000000005BC4: 0B8382FA FF01510C
	v_mul_f32_dpp v194, v12, v194 row_newbcast:2 row_mask:0xf bank_mask:0xf// 000000005BCC: 0B8584FA FF01520C
	v_mul_f32_dpp v195, v12, v195 row_newbcast:3 row_mask:0xf bank_mask:0xf// 000000005BD4: 0B8786FA FF01530C
	v_mul_f32_e32 v192, v17, v192                              // 000000005BDC: 0B818111
	v_mul_f32_e32 v193, v17, v193                              // 000000005BE0: 0B838311
	v_mul_f32_e32 v194, v17, v194                              // 000000005BE4: 0B858511
	v_mul_f32_e32 v195, v17, v195                              // 000000005BE8: 0B878711
	v_mul_f32_e32 v196, v23, v196                              // 000000005BEC: 0B898917
	v_mul_f32_e32 v197, v23, v197                              // 000000005BF0: 0B8B8B17
	v_mul_f32_e32 v198, v23, v198                              // 000000005BF4: 0B8D8D17
	v_mul_f32_e32 v199, v23, v199                              // 000000005BF8: 0B8F8F17
	v_mul_f32_dpp v196, v12, v196 row_newbcast:0 row_mask:0xf bank_mask:0xf// 000000005BFC: 0B8988FA FF01500C
	v_mul_f32_dpp v197, v12, v197 row_newbcast:1 row_mask:0xf bank_mask:0xf// 000000005C04: 0B8B8AFA FF01510C
	v_mul_f32_dpp v198, v12, v198 row_newbcast:2 row_mask:0xf bank_mask:0xf// 000000005C0C: 0B8D8CFA FF01520C
	v_mul_f32_dpp v199, v12, v199 row_newbcast:3 row_mask:0xf bank_mask:0xf// 000000005C14: 0B8F8EFA FF01530C
	v_mul_f32_e32 v196, v18, v196                              // 000000005C1C: 0B898912
	v_mul_f32_e32 v197, v18, v197                              // 000000005C20: 0B8B8B12
	v_mul_f32_e32 v198, v18, v198                              // 000000005C24: 0B8D8D12
	v_mul_f32_e32 v199, v18, v199                              // 000000005C28: 0B8F8F12
	v_mul_f32_e32 v200, v22, v200                              // 000000005C2C: 0B919116
	v_mul_f32_e32 v201, v22, v201                              // 000000005C30: 0B939316
	v_mul_f32_e32 v202, v22, v202                              // 000000005C34: 0B959516
	v_mul_f32_e32 v203, v22, v203                              // 000000005C38: 0B979716
	v_mul_f32_dpp v200, v12, v200 row_newbcast:4 row_mask:0xf bank_mask:0xf// 000000005C3C: 0B9190FA FF01540C
	v_mul_f32_dpp v201, v12, v201 row_newbcast:5 row_mask:0xf bank_mask:0xf// 000000005C44: 0B9392FA FF01550C
	v_mul_f32_dpp v202, v12, v202 row_newbcast:6 row_mask:0xf bank_mask:0xf// 000000005C4C: 0B9594FA FF01560C
	v_mul_f32_dpp v203, v12, v203 row_newbcast:7 row_mask:0xf bank_mask:0xf// 000000005C54: 0B9796FA FF01570C
	v_mul_f32_e32 v200, v17, v200                              // 000000005C5C: 0B919111
	v_mul_f32_e32 v201, v17, v201                              // 000000005C60: 0B939311
	v_mul_f32_e32 v202, v17, v202                              // 000000005C64: 0B959511
	v_mul_f32_e32 v203, v17, v203                              // 000000005C68: 0B979711
	v_mul_f32_e32 v204, v23, v204                              // 000000005C6C: 0B999917
	v_mul_f32_e32 v205, v23, v205                              // 000000005C70: 0B9B9B17
	v_mul_f32_e32 v206, v23, v206                              // 000000005C74: 0B9D9D17
	v_mul_f32_e32 v207, v23, v207                              // 000000005C78: 0B9F9F17
	v_mul_f32_dpp v204, v12, v204 row_newbcast:4 row_mask:0xf bank_mask:0xf// 000000005C7C: 0B9998FA FF01540C
	v_mul_f32_dpp v205, v12, v205 row_newbcast:5 row_mask:0xf bank_mask:0xf// 000000005C84: 0B9B9AFA FF01550C
	v_mul_f32_dpp v206, v12, v206 row_newbcast:6 row_mask:0xf bank_mask:0xf// 000000005C8C: 0B9D9CFA FF01560C
	v_mul_f32_dpp v207, v12, v207 row_newbcast:7 row_mask:0xf bank_mask:0xf// 000000005C94: 0B9F9EFA FF01570C
	v_mul_f32_e32 v204, v18, v204                              // 000000005C9C: 0B999912
	v_mul_f32_e32 v205, v18, v205                              // 000000005CA0: 0B9B9B12
	v_mul_f32_e32 v206, v18, v206                              // 000000005CA4: 0B9D9D12
	v_mul_f32_e32 v207, v18, v207                              // 000000005CA8: 0B9F9F12
	v_mul_f32_e32 v208, v22, v208                              // 000000005CAC: 0BA1A116
	v_mul_f32_e32 v209, v22, v209                              // 000000005CB0: 0BA3A316
	v_mul_f32_e32 v210, v22, v210                              // 000000005CB4: 0BA5A516
	v_mul_f32_e32 v211, v22, v211                              // 000000005CB8: 0BA7A716
	v_mul_f32_dpp v208, v12, v208 row_newbcast:8 row_mask:0xf bank_mask:0xf// 000000005CBC: 0BA1A0FA FF01580C
	v_mul_f32_dpp v209, v12, v209 row_newbcast:9 row_mask:0xf bank_mask:0xf// 000000005CC4: 0BA3A2FA FF01590C
	v_mul_f32_dpp v210, v12, v210 row_newbcast:10 row_mask:0xf bank_mask:0xf// 000000005CCC: 0BA5A4FA FF015A0C
	v_mul_f32_dpp v211, v12, v211 row_newbcast:11 row_mask:0xf bank_mask:0xf// 000000005CD4: 0BA7A6FA FF015B0C
	v_mul_f32_e32 v208, v17, v208                              // 000000005CDC: 0BA1A111
	v_mul_f32_e32 v209, v17, v209                              // 000000005CE0: 0BA3A311
	v_mul_f32_e32 v210, v17, v210                              // 000000005CE4: 0BA5A511
	v_mul_f32_e32 v211, v17, v211                              // 000000005CE8: 0BA7A711
	v_mul_f32_e32 v212, v23, v212                              // 000000005CEC: 0BA9A917
	v_mul_f32_e32 v213, v23, v213                              // 000000005CF0: 0BABAB17
	v_mul_f32_e32 v214, v23, v214                              // 000000005CF4: 0BADAD17
	v_mul_f32_e32 v215, v23, v215                              // 000000005CF8: 0BAFAF17
	v_mul_f32_dpp v212, v12, v212 row_newbcast:8 row_mask:0xf bank_mask:0xf// 000000005CFC: 0BA9A8FA FF01580C
	v_mul_f32_dpp v213, v12, v213 row_newbcast:9 row_mask:0xf bank_mask:0xf// 000000005D04: 0BABAAFA FF01590C
	v_mul_f32_dpp v214, v12, v214 row_newbcast:10 row_mask:0xf bank_mask:0xf// 000000005D0C: 0BADACFA FF015A0C
	v_mul_f32_dpp v215, v12, v215 row_newbcast:11 row_mask:0xf bank_mask:0xf// 000000005D14: 0BAFAEFA FF015B0C
	v_mul_f32_e32 v212, v18, v212                              // 000000005D1C: 0BA9A912
	v_mul_f32_e32 v213, v18, v213                              // 000000005D20: 0BABAB12
	v_mul_f32_e32 v214, v18, v214                              // 000000005D24: 0BADAD12
	v_mul_f32_e32 v215, v18, v215                              // 000000005D28: 0BAFAF12
	v_mul_f32_e32 v216, v22, v216                              // 000000005D2C: 0BB1B116
	v_mul_f32_e32 v217, v22, v217                              // 000000005D30: 0BB3B316
	v_mul_f32_e32 v218, v22, v218                              // 000000005D34: 0BB5B516
	v_mul_f32_e32 v219, v22, v219                              // 000000005D38: 0BB7B716
	v_mul_f32_dpp v216, v12, v216 row_newbcast:12 row_mask:0xf bank_mask:0xf// 000000005D3C: 0BB1B0FA FF015C0C
	v_mul_f32_dpp v217, v12, v217 row_newbcast:13 row_mask:0xf bank_mask:0xf// 000000005D44: 0BB3B2FA FF015D0C
	v_mul_f32_dpp v218, v12, v218 row_newbcast:14 row_mask:0xf bank_mask:0xf// 000000005D4C: 0BB5B4FA FF015E0C
	v_mul_f32_dpp v219, v12, v219 row_newbcast:15 row_mask:0xf bank_mask:0xf// 000000005D54: 0BB7B6FA FF015F0C
	v_mul_f32_e32 v216, v17, v216                              // 000000005D5C: 0BB1B111
	v_mul_f32_e32 v217, v17, v217                              // 000000005D60: 0BB3B311
	v_mul_f32_e32 v218, v17, v218                              // 000000005D64: 0BB5B511
	v_mul_f32_e32 v219, v17, v219                              // 000000005D68: 0BB7B711
	v_mul_f32_e32 v220, v23, v220                              // 000000005D6C: 0BB9B917
	v_mul_f32_e32 v221, v23, v221                              // 000000005D70: 0BBBBB17
	v_mul_f32_e32 v222, v23, v222                              // 000000005D74: 0BBDBD17
	v_mul_f32_e32 v223, v23, v223                              // 000000005D78: 0BBFBF17
	v_mul_f32_dpp v220, v12, v220 row_newbcast:12 row_mask:0xf bank_mask:0xf// 000000005D7C: 0BB9B8FA FF015C0C
	v_mul_f32_dpp v221, v12, v221 row_newbcast:13 row_mask:0xf bank_mask:0xf// 000000005D84: 0BBBBAFA FF015D0C
	v_mul_f32_dpp v222, v12, v222 row_newbcast:14 row_mask:0xf bank_mask:0xf// 000000005D8C: 0BBDBCFA FF015E0C
	v_mul_f32_dpp v223, v12, v223 row_newbcast:15 row_mask:0xf bank_mask:0xf// 000000005D94: 0BBFBEFA FF015F0C
	v_mul_f32_e32 v220, v18, v220                              // 000000005D9C: 0BB9B912
	v_mul_f32_e32 v221, v18, v221                              // 000000005DA0: 0BBBBB12
	v_mul_f32_e32 v222, v18, v222                              // 000000005DA4: 0BBDBD12
	v_mul_f32_e32 v223, v18, v223                              // 000000005DA8: 0BBFBF12
	v_cmp_u_f32_e64 s[48:49], v192, v192                       // 000000005DAC: D0480030 000381C0
	v_add3_u32 v40, v192, v43, 1                               // 000000005DB4: D1FF0028 020657C0
	v_cndmask_b32_e64 v46, v40, v42, s[48:49]                  // 000000005DBC: D100002E 00C25528
	v_cmp_u_f32_e64 s[48:49], v193, v193                       // 000000005DC4: D0480030 000383C1
	v_add3_u32 v40, v193, v43, 1                               // 000000005DCC: D1FF0028 020657C1
	v_cndmask_b32_e64 v47, v40, v42, s[48:49]                  // 000000005DD4: D100002F 00C25528
	v_perm_b32 v192, v47, v46, s52                             // 000000005DDC: D1ED00C0 00D25D2F
	v_cmp_u_f32_e64 s[48:49], v194, v194                       // 000000005DE4: D0480030 000385C2
	v_add3_u32 v40, v194, v43, 1                               // 000000005DEC: D1FF0028 020657C2
	v_cndmask_b32_e64 v46, v40, v42, s[48:49]                  // 000000005DF4: D100002E 00C25528
	v_cmp_u_f32_e64 s[48:49], v195, v195                       // 000000005DFC: D0480030 000387C3
	v_add3_u32 v40, v195, v43, 1                               // 000000005E04: D1FF0028 020657C3
	v_cndmask_b32_e64 v47, v40, v42, s[48:49]                  // 000000005E0C: D100002F 00C25528
	v_perm_b32 v193, v47, v46, s52                             // 000000005E14: D1ED00C1 00D25D2F
	v_cmp_u_f32_e64 s[48:49], v196, v196                       // 000000005E1C: D0480030 000389C4
	v_add3_u32 v40, v196, v43, 1                               // 000000005E24: D1FF0028 020657C4
	v_cndmask_b32_e64 v46, v40, v42, s[48:49]                  // 000000005E2C: D100002E 00C25528
	v_cmp_u_f32_e64 s[48:49], v197, v197                       // 000000005E34: D0480030 00038BC5
	v_add3_u32 v40, v197, v43, 1                               // 000000005E3C: D1FF0028 020657C5
	v_cndmask_b32_e64 v47, v40, v42, s[48:49]                  // 000000005E44: D100002F 00C25528
	v_perm_b32 v194, v47, v46, s52                             // 000000005E4C: D1ED00C2 00D25D2F
	v_cmp_u_f32_e64 s[48:49], v198, v198                       // 000000005E54: D0480030 00038DC6
	v_add3_u32 v40, v198, v43, 1                               // 000000005E5C: D1FF0028 020657C6
	v_cndmask_b32_e64 v46, v40, v42, s[48:49]                  // 000000005E64: D100002E 00C25528
	v_cmp_u_f32_e64 s[48:49], v199, v199                       // 000000005E6C: D0480030 00038FC7
	v_add3_u32 v40, v199, v43, 1                               // 000000005E74: D1FF0028 020657C7
	v_cndmask_b32_e64 v47, v40, v42, s[48:49]                  // 000000005E7C: D100002F 00C25528
	v_perm_b32 v195, v47, v46, s52                             // 000000005E84: D1ED00C3 00D25D2F
	v_cmp_u_f32_e64 s[48:49], v200, v200                       // 000000005E8C: D0480030 000391C8
	v_add3_u32 v40, v200, v43, 1                               // 000000005E94: D1FF0028 020657C8
	v_cndmask_b32_e64 v46, v40, v42, s[48:49]                  // 000000005E9C: D100002E 00C25528
	v_cmp_u_f32_e64 s[48:49], v201, v201                       // 000000005EA4: D0480030 000393C9
	v_add3_u32 v40, v201, v43, 1                               // 000000005EAC: D1FF0028 020657C9
	v_cndmask_b32_e64 v47, v40, v42, s[48:49]                  // 000000005EB4: D100002F 00C25528
	v_perm_b32 v196, v47, v46, s52                             // 000000005EBC: D1ED00C4 00D25D2F
	v_cmp_u_f32_e64 s[48:49], v202, v202                       // 000000005EC4: D0480030 000395CA
	v_add3_u32 v40, v202, v43, 1                               // 000000005ECC: D1FF0028 020657CA
	v_cndmask_b32_e64 v46, v40, v42, s[48:49]                  // 000000005ED4: D100002E 00C25528
	v_cmp_u_f32_e64 s[48:49], v203, v203                       // 000000005EDC: D0480030 000397CB
	v_add3_u32 v40, v203, v43, 1                               // 000000005EE4: D1FF0028 020657CB
	v_cndmask_b32_e64 v47, v40, v42, s[48:49]                  // 000000005EEC: D100002F 00C25528
	v_perm_b32 v197, v47, v46, s52                             // 000000005EF4: D1ED00C5 00D25D2F
	v_cmp_u_f32_e64 s[48:49], v204, v204                       // 000000005EFC: D0480030 000399CC
	v_add3_u32 v40, v204, v43, 1                               // 000000005F04: D1FF0028 020657CC
	v_cndmask_b32_e64 v46, v40, v42, s[48:49]                  // 000000005F0C: D100002E 00C25528
	v_cmp_u_f32_e64 s[48:49], v205, v205                       // 000000005F14: D0480030 00039BCD
	v_add3_u32 v40, v205, v43, 1                               // 000000005F1C: D1FF0028 020657CD
	v_cndmask_b32_e64 v47, v40, v42, s[48:49]                  // 000000005F24: D100002F 00C25528
	v_perm_b32 v198, v47, v46, s52                             // 000000005F2C: D1ED00C6 00D25D2F
	v_cmp_u_f32_e64 s[48:49], v206, v206                       // 000000005F34: D0480030 00039DCE
	v_add3_u32 v40, v206, v43, 1                               // 000000005F3C: D1FF0028 020657CE
	v_cndmask_b32_e64 v46, v40, v42, s[48:49]                  // 000000005F44: D100002E 00C25528
	v_cmp_u_f32_e64 s[48:49], v207, v207                       // 000000005F4C: D0480030 00039FCF
	v_add3_u32 v40, v207, v43, 1                               // 000000005F54: D1FF0028 020657CF
	v_cndmask_b32_e64 v47, v40, v42, s[48:49]                  // 000000005F5C: D100002F 00C25528
	v_perm_b32 v199, v47, v46, s52                             // 000000005F64: D1ED00C7 00D25D2F
	v_cmp_u_f32_e64 s[48:49], v208, v208                       // 000000005F6C: D0480030 0003A1D0
	v_add3_u32 v40, v208, v43, 1                               // 000000005F74: D1FF0028 020657D0
	v_cndmask_b32_e64 v46, v40, v42, s[48:49]                  // 000000005F7C: D100002E 00C25528
	v_cmp_u_f32_e64 s[48:49], v209, v209                       // 000000005F84: D0480030 0003A3D1
	v_add3_u32 v40, v209, v43, 1                               // 000000005F8C: D1FF0028 020657D1
	v_cndmask_b32_e64 v47, v40, v42, s[48:49]                  // 000000005F94: D100002F 00C25528
	v_perm_b32 v200, v47, v46, s52                             // 000000005F9C: D1ED00C8 00D25D2F
	v_cmp_u_f32_e64 s[48:49], v210, v210                       // 000000005FA4: D0480030 0003A5D2
	v_add3_u32 v40, v210, v43, 1                               // 000000005FAC: D1FF0028 020657D2
	v_cndmask_b32_e64 v46, v40, v42, s[48:49]                  // 000000005FB4: D100002E 00C25528
	v_cmp_u_f32_e64 s[48:49], v211, v211                       // 000000005FBC: D0480030 0003A7D3
	v_add3_u32 v40, v211, v43, 1                               // 000000005FC4: D1FF0028 020657D3
	v_cndmask_b32_e64 v47, v40, v42, s[48:49]                  // 000000005FCC: D100002F 00C25528
	v_perm_b32 v201, v47, v46, s52                             // 000000005FD4: D1ED00C9 00D25D2F
	v_cmp_u_f32_e64 s[48:49], v212, v212                       // 000000005FDC: D0480030 0003A9D4
	v_add3_u32 v40, v212, v43, 1                               // 000000005FE4: D1FF0028 020657D4
	v_cndmask_b32_e64 v46, v40, v42, s[48:49]                  // 000000005FEC: D100002E 00C25528
	v_cmp_u_f32_e64 s[48:49], v213, v213                       // 000000005FF4: D0480030 0003ABD5
	v_add3_u32 v40, v213, v43, 1                               // 000000005FFC: D1FF0028 020657D5
	v_cndmask_b32_e64 v47, v40, v42, s[48:49]                  // 000000006004: D100002F 00C25528
	v_perm_b32 v202, v47, v46, s52                             // 00000000600C: D1ED00CA 00D25D2F
	v_cmp_u_f32_e64 s[48:49], v214, v214                       // 000000006014: D0480030 0003ADD6
	v_add3_u32 v40, v214, v43, 1                               // 00000000601C: D1FF0028 020657D6
	v_cndmask_b32_e64 v46, v40, v42, s[48:49]                  // 000000006024: D100002E 00C25528
	v_cmp_u_f32_e64 s[48:49], v215, v215                       // 00000000602C: D0480030 0003AFD7
	v_add3_u32 v40, v215, v43, 1                               // 000000006034: D1FF0028 020657D7
	v_cndmask_b32_e64 v47, v40, v42, s[48:49]                  // 00000000603C: D100002F 00C25528
	v_perm_b32 v203, v47, v46, s52                             // 000000006044: D1ED00CB 00D25D2F
	v_cmp_u_f32_e64 s[48:49], v216, v216                       // 00000000604C: D0480030 0003B1D8
	v_add3_u32 v40, v216, v43, 1                               // 000000006054: D1FF0028 020657D8
	v_cndmask_b32_e64 v46, v40, v42, s[48:49]                  // 00000000605C: D100002E 00C25528
	v_cmp_u_f32_e64 s[48:49], v217, v217                       // 000000006064: D0480030 0003B3D9
	v_add3_u32 v40, v217, v43, 1                               // 00000000606C: D1FF0028 020657D9
	v_cndmask_b32_e64 v47, v40, v42, s[48:49]                  // 000000006074: D100002F 00C25528
	v_perm_b32 v204, v47, v46, s52                             // 00000000607C: D1ED00CC 00D25D2F
	v_cmp_u_f32_e64 s[48:49], v218, v218                       // 000000006084: D0480030 0003B5DA
	v_add3_u32 v40, v218, v43, 1                               // 00000000608C: D1FF0028 020657DA
	v_cndmask_b32_e64 v46, v40, v42, s[48:49]                  // 000000006094: D100002E 00C25528
	v_cmp_u_f32_e64 s[48:49], v219, v219                       // 00000000609C: D0480030 0003B7DB
	v_add3_u32 v40, v219, v43, 1                               // 0000000060A4: D1FF0028 020657DB
	v_cndmask_b32_e64 v47, v40, v42, s[48:49]                  // 0000000060AC: D100002F 00C25528
	v_perm_b32 v205, v47, v46, s52                             // 0000000060B4: D1ED00CD 00D25D2F
	v_cmp_u_f32_e64 s[48:49], v220, v220                       // 0000000060BC: D0480030 0003B9DC
	v_add3_u32 v40, v220, v43, 1                               // 0000000060C4: D1FF0028 020657DC
	v_cndmask_b32_e64 v46, v40, v42, s[48:49]                  // 0000000060CC: D100002E 00C25528
	v_cmp_u_f32_e64 s[48:49], v221, v221                       // 0000000060D4: D0480030 0003BBDD
	v_add3_u32 v40, v221, v43, 1                               // 0000000060DC: D1FF0028 020657DD
	v_cndmask_b32_e64 v47, v40, v42, s[48:49]                  // 0000000060E4: D100002F 00C25528
	v_perm_b32 v206, v47, v46, s52                             // 0000000060EC: D1ED00CE 00D25D2F
	v_cmp_u_f32_e64 s[48:49], v222, v222                       // 0000000060F4: D0480030 0003BDDE
	v_add3_u32 v40, v222, v43, 1                               // 0000000060FC: D1FF0028 020657DE
	v_cndmask_b32_e64 v46, v40, v42, s[48:49]                  // 000000006104: D100002E 00C25528
	v_cmp_u_f32_e64 s[48:49], v223, v223                       // 00000000610C: D0480030 0003BFDF
	v_add3_u32 v40, v223, v43, 1                               // 000000006114: D1FF0028 020657DF
	v_cndmask_b32_e64 v47, v40, v42, s[48:49]                  // 00000000611C: D100002F 00C25528
	v_perm_b32 v207, v47, v46, s52                             // 000000006124: D1ED00CF 00D25D2F
	ds_write_b64 v3, v[192:193] offset:26880                   // 00000000612C: D89A6900 0000C003
	ds_write_b64 v3, v[194:195] offset:35584                   // 000000006134: D89A8B00 0000C203
	ds_write_b64 v3, v[196:197] offset:29056                   // 00000000613C: D89A7180 0000C403
	ds_write_b64 v3, v[198:199] offset:37760                   // 000000006144: D89A9380 0000C603
	ds_write_b64 v3, v[200:201] offset:31232                   // 00000000614C: D89A7A00 0000C803
	ds_write_b64 v3, v[202:203] offset:39936                   // 000000006154: D89A9C00 0000CA03
	ds_write_b64 v3, v[204:205] offset:33408                   // 00000000615C: D89A8280 0000CC03
	ds_write_b64 v3, v[206:207] offset:42112                   // 000000006164: D89AA480 0000CE03
	s_waitcnt lgkmcnt(0)                                       // 00000000616C: BF8CC07F
	s_barrier                                                  // 000000006170: BF8A0000
	ds_read_b32 v64, v4 offset:26880                           // 000000006174: D86C6900 40000004
	ds_read_b32 v65, v4 offset:31232                           // 00000000617C: D86C7A00 41000004
	ds_read_b32 v66, v4 offset:26912                           // 000000006184: D86C6920 42000004
	ds_read_b32 v67, v4 offset:31264                           // 00000000618C: D86C7A20 43000004
	ds_read_b32 v68, v4 offset:26944                           // 000000006194: D86C6940 44000004
	ds_read_b32 v69, v4 offset:31296                           // 00000000619C: D86C7A40 45000004
	ds_read_b32 v70, v4 offset:26976                           // 0000000061A4: D86C6960 46000004
	ds_read_b32 v71, v4 offset:31328                           // 0000000061AC: D86C7A60 47000004
	ds_read_b32 v72, v4 offset:35584                           // 0000000061B4: D86C8B00 48000004
	ds_read_b32 v73, v4 offset:39936                           // 0000000061BC: D86C9C00 49000004
	ds_read_b32 v74, v4 offset:35616                           // 0000000061C4: D86C8B20 4A000004
	ds_read_b32 v75, v4 offset:39968                           // 0000000061CC: D86C9C20 4B000004
	ds_read_b32 v76, v4 offset:35648                           // 0000000061D4: D86C8B40 4C000004
	ds_read_b32 v77, v4 offset:40000                           // 0000000061DC: D86C9C40 4D000004
	ds_read_b32 v78, v4 offset:35680                           // 0000000061E4: D86C8B60 4E000004
	ds_read_b32 v79, v4 offset:40032                           // 0000000061EC: D86C9C60 4F000004
	s_waitcnt lgkmcnt(0)                                       // 0000000061F4: BF8CC07F
	s_mov_b64 exec, s[20:21]                                   // 0000000061F8: BEFE0114
	global_atomic_pk_add_bf16 v80, v64, s[8:9]                 // 0000000061FC: DD488000 00084050
	s_mov_b64 exec, s[36:37]                                   // 000000006204: BEFE0124
	s_mov_b64 exec, s[20:21]                                   // 000000006208: BEFE0114
	global_atomic_pk_add_bf16 v80, v65, s[8:9] offset:256      // 00000000620C: DD488100 00084150
	s_mov_b64 exec, s[36:37]                                   // 000000006214: BEFE0124
	s_mov_b64 exec, s[22:23]                                   // 000000006218: BEFE0116
	global_atomic_pk_add_bf16 v82, v66, s[8:9]                 // 00000000621C: DD488000 00084252
	s_mov_b64 exec, s[36:37]                                   // 000000006224: BEFE0124
	s_mov_b64 exec, s[22:23]                                   // 000000006228: BEFE0116
	global_atomic_pk_add_bf16 v82, v67, s[8:9] offset:256      // 00000000622C: DD488100 00084352
	s_mov_b64 exec, s[36:37]                                   // 000000006234: BEFE0124
	s_mov_b64 exec, s[24:25]                                   // 000000006238: BEFE0118
	global_atomic_pk_add_bf16 v84, v68, s[8:9]                 // 00000000623C: DD488000 00084454
	s_mov_b64 exec, s[36:37]                                   // 000000006244: BEFE0124
	s_mov_b64 exec, s[24:25]                                   // 000000006248: BEFE0118
	global_atomic_pk_add_bf16 v84, v69, s[8:9] offset:256      // 00000000624C: DD488100 00084554
	s_mov_b64 exec, s[36:37]                                   // 000000006254: BEFE0124
	s_mov_b64 exec, s[26:27]                                   // 000000006258: BEFE011A
	global_atomic_pk_add_bf16 v86, v70, s[8:9]                 // 00000000625C: DD488000 00084656
	s_mov_b64 exec, s[36:37]                                   // 000000006264: BEFE0124
	s_mov_b64 exec, s[26:27]                                   // 000000006268: BEFE011A
	global_atomic_pk_add_bf16 v86, v71, s[8:9] offset:256      // 00000000626C: DD488100 00084756
	s_mov_b64 exec, s[36:37]                                   // 000000006274: BEFE0124
	s_mov_b64 exec, s[28:29]                                   // 000000006278: BEFE011C
	global_atomic_pk_add_bf16 v88, v72, s[8:9]                 // 00000000627C: DD488000 00084858
	s_mov_b64 exec, s[36:37]                                   // 000000006284: BEFE0124
	s_mov_b64 exec, s[28:29]                                   // 000000006288: BEFE011C
	global_atomic_pk_add_bf16 v88, v73, s[8:9] offset:256      // 00000000628C: DD488100 00084958
	s_mov_b64 exec, s[36:37]                                   // 000000006294: BEFE0124
	s_mov_b64 exec, s[30:31]                                   // 000000006298: BEFE011E
	global_atomic_pk_add_bf16 v90, v74, s[8:9]                 // 00000000629C: DD488000 00084A5A
	s_mov_b64 exec, s[36:37]                                   // 0000000062A4: BEFE0124
	s_mov_b64 exec, s[30:31]                                   // 0000000062A8: BEFE011E
	global_atomic_pk_add_bf16 v90, v75, s[8:9] offset:256      // 0000000062AC: DD488100 00084B5A
	s_mov_b64 exec, s[36:37]                                   // 0000000062B4: BEFE0124
	s_mov_b64 exec, s[32:33]                                   // 0000000062B8: BEFE0120
	global_atomic_pk_add_bf16 v92, v76, s[8:9]                 // 0000000062BC: DD488000 00084C5C
	s_mov_b64 exec, s[36:37]                                   // 0000000062C4: BEFE0124
	s_mov_b64 exec, s[32:33]                                   // 0000000062C8: BEFE0120
	global_atomic_pk_add_bf16 v92, v77, s[8:9] offset:256      // 0000000062CC: DD488100 00084D5C
	s_mov_b64 exec, s[36:37]                                   // 0000000062D4: BEFE0124
	s_mov_b64 exec, s[34:35]                                   // 0000000062D8: BEFE0122
	global_atomic_pk_add_bf16 v94, v78, s[8:9]                 // 0000000062DC: DD488000 00084E5E
	s_mov_b64 exec, s[36:37]                                   // 0000000062E4: BEFE0124
	s_mov_b64 exec, s[34:35]                                   // 0000000062E8: BEFE0122
	global_atomic_pk_add_bf16 v94, v79, s[8:9] offset:256      // 0000000062EC: DD488100 00084F5E
	s_mov_b64 exec, s[36:37]                                   // 0000000062F4: BEFE0124
	s_add_u32 s8, s59, s8                                      // 0000000062F8: 8008083B
	s_addc_u32 s9, 0, s9                                       // 0000000062FC: 82090980
	s_addk_i32 s80, 0x100                                      // 000000006300: B7500100
	s_cmp_lt_i32 s80, s81                                      // 000000006304: BF045150
	s_cbranch_scc0 label_0E04                                  // 000000006308: BF840001
	s_branch label_08E5                                        // 00000000630C: BF82FAE1

0000000000006310 <label_0E04>:
	s_nop 0                                                    // 000000006310: BF800000
	s_nop 0                                                    // 000000006314: BF800000
	s_branch label_1999                                        // 000000006318: BF820B92

000000000000631c <label_0E07>:
	s_waitcnt vmcnt(8) lgkmcnt(0)                              // 00000000631C: BF8C0078
	s_barrier                                                  // 000000006320: BF8A0000
	v_mfma_f32_16x16x32_fp8_fp8 v[128:131], a[0:1], v[160:161], v[128:131]// 000000006324: D3F30080 0E034100
	buffer_load_dwordx4 a[64:67], v32, s[92:95], 0 offen       // 00000000632C: E05C1000 80974020
	v_mfma_f32_16x16x32_fp8_fp8 v[128:131], a[2:3], v[162:163], v[128:131]// 000000006334: D3F30080 0E034502
	v_mfma_f32_16x16x32_fp8_fp8 v[128:131], a[4:5], v[164:165], v[128:131]// 00000000633C: D3F30080 0E034904
	buffer_load_dword v24, s[20:23], 0 offen lds               // 000000006344: E0511000 80050018
	s_add_u32 m0, 0x100, s51                                   // 00000000634C: 807C33FF 00000100
	v_mfma_f32_16x16x32_fp8_fp8 v[128:131], a[6:7], v[166:167], v[128:131]// 000000006354: D3F30080 0E034D06
	v_mfma_f32_16x16x32_fp8_fp8 v[128:131], a[8:9], v[168:169], v[128:131]// 00000000635C: D3F30080 0E035108
	buffer_load_dwordx4 a[68:71], v32, s[92:95], 0 offen offset:1024// 000000006364: E05C1400 80974420
	v_mfma_f32_16x16x32_fp8_fp8 v[128:131], a[10:11], v[170:171], v[128:131]// 00000000636C: D3F30080 0E03550A
	v_mfma_f32_16x16x32_fp8_fp8 v[128:131], a[12:13], v[172:173], v[128:131]// 000000006374: D3F30080 0E03590C
	buffer_load_dword v25, s[20:23], 0 offen lds               // 00000000637C: E0511000 80050019
	s_add_u32 m0, 0x200, s51                                   // 000000006384: 807C33FF 00000200
	v_mfma_f32_16x16x32_fp8_fp8 v[128:131], a[14:15], v[174:175], v[128:131]// 00000000638C: D3F30080 0E035D0E
	v_mfma_f32_16x16x32_fp8_fp8 v[132:135], a[0:1], v[176:177], v[132:135]// 000000006394: D3F30084 0E136100
	buffer_load_dwordx4 a[72:75], v32, s[92:95], 0 offen offset:2048// 00000000639C: E05C1800 80974820
	v_mfma_f32_16x16x32_fp8_fp8 v[132:135], a[2:3], v[178:179], v[132:135]// 0000000063A4: D3F30084 0E136502
	v_mfma_f32_16x16x32_fp8_fp8 v[132:135], a[4:5], v[180:181], v[132:135]// 0000000063AC: D3F30084 0E136904
	buffer_load_dword v26, s[20:23], 0 offen lds               // 0000000063B4: E0511000 8005001A
	s_add_u32 m0, 0x300, s51                                   // 0000000063BC: 807C33FF 00000300
	v_mfma_f32_16x16x32_fp8_fp8 v[132:135], a[6:7], v[182:183], v[132:135]// 0000000063C4: D3F30084 0E136D06
	v_mfma_f32_16x16x32_fp8_fp8 v[132:135], a[8:9], v[184:185], v[132:135]// 0000000063CC: D3F30084 0E137108
	buffer_load_dwordx4 a[76:79], v32, s[92:95], 0 offen offset:3072// 0000000063D4: E05C1C00 80974C20
	v_mfma_f32_16x16x32_fp8_fp8 v[132:135], a[10:11], v[186:187], v[132:135]// 0000000063DC: D3F30084 0E13750A
	v_mfma_f32_16x16x32_fp8_fp8 v[132:135], a[12:13], v[188:189], v[132:135]// 0000000063E4: D3F30084 0E13790C
	buffer_load_dword v27, s[20:23], 0 offen lds               // 0000000063EC: E0511000 8005001B
	s_add_u32 m0, 0x400, s51                                   // 0000000063F4: 807C33FF 00000400
	v_mfma_f32_16x16x32_fp8_fp8 v[132:135], a[14:15], v[190:191], v[132:135]// 0000000063FC: D3F30084 0E137D0E
	v_mfma_f32_16x16x32_fp8_fp8 v[136:139], a[16:17], v[160:161], v[136:139]// 000000006404: D3F30088 0E234110
	buffer_load_dwordx4 a[80:83], v33, s[92:95], 0 offen       // 00000000640C: E05C1000 80975021
	v_mfma_f32_16x16x32_fp8_fp8 v[136:139], a[18:19], v[162:163], v[136:139]// 000000006414: D3F30088 0E234512
	v_mfma_f32_16x16x32_fp8_fp8 v[136:139], a[20:21], v[164:165], v[136:139]// 00000000641C: D3F30088 0E234914
	buffer_load_dword v28, s[20:23], 0 offen lds               // 000000006424: E0511000 8005001C
	s_add_u32 m0, 0x500, s51                                   // 00000000642C: 807C33FF 00000500
	v_mfma_f32_16x16x32_fp8_fp8 v[136:139], a[22:23], v[166:167], v[136:139]// 000000006434: D3F30088 0E234D16
	v_mfma_f32_16x16x32_fp8_fp8 v[136:139], a[24:25], v[168:169], v[136:139]// 00000000643C: D3F30088 0E235118
	buffer_load_dwordx4 a[84:87], v33, s[92:95], 0 offen offset:1024// 000000006444: E05C1400 80975421
	v_mfma_f32_16x16x32_fp8_fp8 v[136:139], a[26:27], v[170:171], v[136:139]// 00000000644C: D3F30088 0E23551A
	v_mfma_f32_16x16x32_fp8_fp8 v[136:139], a[28:29], v[172:173], v[136:139]// 000000006454: D3F30088 0E23591C
	buffer_load_dword v29, s[20:23], 0 offen lds               // 00000000645C: E0511000 8005001D
	s_add_u32 m0, 0x600, s51                                   // 000000006464: 807C33FF 00000600
	v_mfma_f32_16x16x32_fp8_fp8 v[136:139], a[30:31], v[174:175], v[136:139]// 00000000646C: D3F30088 0E235D1E
	v_mfma_f32_16x16x32_fp8_fp8 v[140:143], a[16:17], v[176:177], v[140:143]// 000000006474: D3F3008C 0E336110
	buffer_load_dwordx4 a[88:91], v33, s[92:95], 0 offen offset:2048// 00000000647C: E05C1800 80975821
	v_mfma_f32_16x16x32_fp8_fp8 v[140:143], a[18:19], v[178:179], v[140:143]// 000000006484: D3F3008C 0E336512
	v_mfma_f32_16x16x32_fp8_fp8 v[140:143], a[20:21], v[180:181], v[140:143]// 00000000648C: D3F3008C 0E336914
	buffer_load_dword v30, s[20:23], 0 offen lds               // 000000006494: E0511000 8005001E
	s_add_u32 m0, 0x700, s51                                   // 00000000649C: 807C33FF 00000700
	v_mfma_f32_16x16x32_fp8_fp8 v[140:143], a[22:23], v[182:183], v[140:143]// 0000000064A4: D3F3008C 0E336D16
	v_mfma_f32_16x16x32_fp8_fp8 v[140:143], a[24:25], v[184:185], v[140:143]// 0000000064AC: D3F3008C 0E337118
	buffer_load_dwordx4 a[92:95], v33, s[92:95], 0 offen offset:3072// 0000000064B4: E05C1C00 80975C21
	v_mfma_f32_16x16x32_fp8_fp8 v[140:143], a[26:27], v[186:187], v[140:143]// 0000000064BC: D3F3008C 0E33751A
	v_mfma_f32_16x16x32_fp8_fp8 v[140:143], a[28:29], v[188:189], v[140:143]// 0000000064C4: D3F3008C 0E33791C
	buffer_load_dword v31, s[20:23], 0 offen lds               // 0000000064CC: E0511000 8005001F
	s_add_u32 m0, 0, s50                                       // 0000000064D4: 807C3280
	v_mfma_f32_16x16x32_fp8_fp8 v[140:143], a[30:31], v[190:191], v[140:143]// 0000000064D8: D3F3008C 0E337D1E
	s_waitcnt vmcnt(20)                                        // 0000000064E0: BF8C4F74
	v_mfma_f32_16x16x32_fp8_fp8 v[144:147], a[32:33], v[160:161], v[144:147]// 0000000064E4: D3F30090 0E434120
	buffer_load_dwordx4 a[96:99], v34, s[92:95], 0 offen       // 0000000064EC: E05C1000 80976022
	v_mfma_f32_16x16x32_fp8_fp8 v[144:147], a[34:35], v[162:163], v[144:147]// 0000000064F4: D3F30090 0E434522
	v_mfma_f32_16x16x32_fp8_fp8 v[144:147], a[36:37], v[164:165], v[144:147]// 0000000064FC: D3F30090 0E434924
	v_mfma_f32_16x16x32_fp8_fp8 v[144:147], a[38:39], v[166:167], v[144:147]// 000000006504: D3F30090 0E434D26
	v_mfma_f32_16x16x32_fp8_fp8 v[144:147], a[40:41], v[168:169], v[144:147]// 00000000650C: D3F30090 0E435128
	buffer_load_dwordx4 a[100:103], v34, s[92:95], 0 offen offset:1024// 000000006514: E05C1400 80976422
	v_mfma_f32_16x16x32_fp8_fp8 v[144:147], a[42:43], v[170:171], v[144:147]// 00000000651C: D3F30090 0E43552A
	v_mfma_f32_16x16x32_fp8_fp8 v[144:147], a[44:45], v[172:173], v[144:147]// 000000006524: D3F30090 0E43592C
	v_mfma_f32_16x16x32_fp8_fp8 v[144:147], a[46:47], v[174:175], v[144:147]// 00000000652C: D3F30090 0E435D2E
	v_mfma_f32_16x16x32_fp8_fp8 v[148:151], a[32:33], v[176:177], v[148:151]// 000000006534: D3F30094 0E536120
	buffer_load_dwordx4 a[104:107], v34, s[92:95], 0 offen offset:2048// 00000000653C: E05C1800 80976822
	v_mfma_f32_16x16x32_fp8_fp8 v[148:151], a[34:35], v[178:179], v[148:151]// 000000006544: D3F30094 0E536522
	v_mfma_f32_16x16x32_fp8_fp8 v[148:151], a[36:37], v[180:181], v[148:151]// 00000000654C: D3F30094 0E536924
	v_mfma_f32_16x16x32_fp8_fp8 v[148:151], a[38:39], v[182:183], v[148:151]// 000000006554: D3F30094 0E536D26
	v_mfma_f32_16x16x32_fp8_fp8 v[148:151], a[40:41], v[184:185], v[148:151]// 00000000655C: D3F30094 0E537128
	buffer_load_dwordx4 a[108:111], v34, s[92:95], 0 offen offset:3072// 000000006564: E05C1C00 80976C22
	v_mfma_f32_16x16x32_fp8_fp8 v[148:151], a[42:43], v[186:187], v[148:151]// 00000000656C: D3F30094 0E53752A
	v_mfma_f32_16x16x32_fp8_fp8 v[148:151], a[44:45], v[188:189], v[148:151]// 000000006574: D3F30094 0E53792C
	v_mfma_f32_16x16x32_fp8_fp8 v[148:151], a[46:47], v[190:191], v[148:151]// 00000000657C: D3F30094 0E537D2E
	s_waitcnt vmcnt(20)                                        // 000000006584: BF8C4F74
	v_mfma_f32_16x16x32_fp8_fp8 v[152:155], a[48:49], v[160:161], v[152:155]// 000000006588: D3F30098 0E634130
	buffer_load_dwordx4 a[112:115], v35, s[92:95], 0 offen     // 000000006590: E05C1000 80977023
	v_mfma_f32_16x16x32_fp8_fp8 v[152:155], a[50:51], v[162:163], v[152:155]// 000000006598: D3F30098 0E634532
	v_mfma_f32_16x16x32_fp8_fp8 v[152:155], a[52:53], v[164:165], v[152:155]// 0000000065A0: D3F30098 0E634934
	v_mfma_f32_16x16x32_fp8_fp8 v[152:155], a[54:55], v[166:167], v[152:155]// 0000000065A8: D3F30098 0E634D36
	v_mfma_f32_16x16x32_fp8_fp8 v[152:155], a[56:57], v[168:169], v[152:155]// 0000000065B0: D3F30098 0E635138
	buffer_load_dwordx4 a[116:119], v35, s[92:95], 0 offen offset:1024// 0000000065B8: E05C1400 80977423
	v_mfma_f32_16x16x32_fp8_fp8 v[152:155], a[58:59], v[170:171], v[152:155]// 0000000065C0: D3F30098 0E63553A
	v_mfma_f32_16x16x32_fp8_fp8 v[152:155], a[60:61], v[172:173], v[152:155]// 0000000065C8: D3F30098 0E63593C
	v_mfma_f32_16x16x32_fp8_fp8 v[152:155], a[62:63], v[174:175], v[152:155]// 0000000065D0: D3F30098 0E635D3E
	v_mfma_f32_16x16x32_fp8_fp8 v[156:159], a[48:49], v[176:177], v[156:159]// 0000000065D8: D3F3009C 0E736130
	buffer_load_dwordx4 a[120:123], v35, s[92:95], 0 offen offset:2048// 0000000065E0: E05C1800 80977823
	v_mfma_f32_16x16x32_fp8_fp8 v[156:159], a[50:51], v[178:179], v[156:159]// 0000000065E8: D3F3009C 0E736532
	v_mfma_f32_16x16x32_fp8_fp8 v[156:159], a[52:53], v[180:181], v[156:159]// 0000000065F0: D3F3009C 0E736934
	v_mfma_f32_16x16x32_fp8_fp8 v[156:159], a[54:55], v[182:183], v[156:159]// 0000000065F8: D3F3009C 0E736D36
	v_mfma_f32_16x16x32_fp8_fp8 v[156:159], a[56:57], v[184:185], v[156:159]// 000000006600: D3F3009C 0E737138
	buffer_load_dwordx4 a[124:127], v35, s[92:95], 0 offen offset:3072// 000000006608: E05C1C00 80977C23
	v_mfma_f32_16x16x32_fp8_fp8 v[156:159], a[58:59], v[186:187], v[156:159]// 000000006610: D3F3009C 0E73753A
	v_mfma_f32_16x16x32_fp8_fp8 v[156:159], a[60:61], v[188:189], v[156:159]// 000000006618: D3F3009C 0E73793C
	v_mfma_f32_16x16x32_fp8_fp8 v[156:159], a[62:63], v[190:191], v[156:159]// 000000006620: D3F3009C 0E737D3E
	s_waitcnt vmcnt(8)                                         // 000000006628: BF8C0F78
	s_barrier                                                  // 00000000662C: BF8A0000
	v_mfma_f32_16x16x32_fp8_fp8 v[64:67], a[64:65], v[160:161], v[64:67]// 000000006630: D3F30040 0D034140
	buffer_load_dwordx4 a[0:3], v32, s[24:27], 0 offen         // 000000006638: E05C1000 80860020
	v_mfma_f32_16x16x32_fp8_fp8 v[64:67], a[66:67], v[162:163], v[64:67]// 000000006640: D3F30040 0D034542
	v_mfma_f32_16x16x32_fp8_fp8 v[64:67], a[68:69], v[164:165], v[64:67]// 000000006648: D3F30040 0D034944
	v_mfma_f32_16x16x32_fp8_fp8 v[64:67], a[70:71], v[166:167], v[64:67]// 000000006650: D3F30040 0D034D46
	v_mfma_f32_16x16x32_fp8_fp8 v[64:67], a[72:73], v[168:169], v[64:67]// 000000006658: D3F30040 0D035148
	buffer_load_dwordx4 a[4:7], v32, s[24:27], 0 offen offset:1024// 000000006660: E05C1400 80860420
	v_mfma_f32_16x16x32_fp8_fp8 v[64:67], a[74:75], v[170:171], v[64:67]// 000000006668: D3F30040 0D03554A
	v_mfma_f32_16x16x32_fp8_fp8 v[64:67], a[76:77], v[172:173], v[64:67]// 000000006670: D3F30040 0D03594C
	v_mfma_f32_16x16x32_fp8_fp8 v[64:67], a[78:79], v[174:175], v[64:67]// 000000006678: D3F30040 0D035D4E
	v_mfma_f32_16x16x32_fp8_fp8 v[68:71], a[64:65], v[176:177], v[68:71]// 000000006680: D3F30044 0D136140
	buffer_load_dwordx4 a[8:11], v32, s[24:27], 0 offen offset:2048// 000000006688: E05C1800 80860820
	v_mfma_f32_16x16x32_fp8_fp8 v[68:71], a[66:67], v[178:179], v[68:71]// 000000006690: D3F30044 0D136542
	v_mfma_f32_16x16x32_fp8_fp8 v[68:71], a[68:69], v[180:181], v[68:71]// 000000006698: D3F30044 0D136944
	v_mfma_f32_16x16x32_fp8_fp8 v[68:71], a[70:71], v[182:183], v[68:71]// 0000000066A0: D3F30044 0D136D46
	v_mfma_f32_16x16x32_fp8_fp8 v[68:71], a[72:73], v[184:185], v[68:71]// 0000000066A8: D3F30044 0D137148
	buffer_load_dwordx4 a[12:15], v32, s[24:27], 0 offen offset:3072// 0000000066B0: E05C1C00 80860C20
	v_mfma_f32_16x16x32_fp8_fp8 v[68:71], a[74:75], v[186:187], v[68:71]// 0000000066B8: D3F30044 0D13754A
	v_mfma_f32_16x16x32_fp8_fp8 v[68:71], a[76:77], v[188:189], v[68:71]// 0000000066C0: D3F30044 0D13794C
	v_mfma_f32_16x16x32_fp8_fp8 v[68:71], a[78:79], v[190:191], v[68:71]// 0000000066C8: D3F30044 0D137D4E
	v_mfma_f32_16x16x32_fp8_fp8 v[72:75], a[80:81], v[160:161], v[72:75]// 0000000066D0: D3F30048 0D234150
	buffer_load_dwordx4 a[16:19], v33, s[24:27], 0 offen       // 0000000066D8: E05C1000 80861021
	v_mfma_f32_16x16x32_fp8_fp8 v[72:75], a[82:83], v[162:163], v[72:75]// 0000000066E0: D3F30048 0D234552
	v_mfma_f32_16x16x32_fp8_fp8 v[72:75], a[84:85], v[164:165], v[72:75]// 0000000066E8: D3F30048 0D234954
	v_mfma_f32_16x16x32_fp8_fp8 v[72:75], a[86:87], v[166:167], v[72:75]// 0000000066F0: D3F30048 0D234D56
	v_mfma_f32_16x16x32_fp8_fp8 v[72:75], a[88:89], v[168:169], v[72:75]// 0000000066F8: D3F30048 0D235158
	buffer_load_dwordx4 a[20:23], v33, s[24:27], 0 offen offset:1024// 000000006700: E05C1400 80861421
	v_mfma_f32_16x16x32_fp8_fp8 v[72:75], a[90:91], v[170:171], v[72:75]// 000000006708: D3F30048 0D23555A
	v_mfma_f32_16x16x32_fp8_fp8 v[72:75], a[92:93], v[172:173], v[72:75]// 000000006710: D3F30048 0D23595C
	v_mfma_f32_16x16x32_fp8_fp8 v[72:75], a[94:95], v[174:175], v[72:75]// 000000006718: D3F30048 0D235D5E
	v_mfma_f32_16x16x32_fp8_fp8 v[76:79], a[80:81], v[176:177], v[76:79]// 000000006720: D3F3004C 0D336150
	buffer_load_dwordx4 a[24:27], v33, s[24:27], 0 offen offset:2048// 000000006728: E05C1800 80861821
	v_mfma_f32_16x16x32_fp8_fp8 v[76:79], a[82:83], v[178:179], v[76:79]// 000000006730: D3F3004C 0D336552
	v_mfma_f32_16x16x32_fp8_fp8 v[76:79], a[84:85], v[180:181], v[76:79]// 000000006738: D3F3004C 0D336954
	v_mfma_f32_16x16x32_fp8_fp8 v[76:79], a[86:87], v[182:183], v[76:79]// 000000006740: D3F3004C 0D336D56
	v_mfma_f32_16x16x32_fp8_fp8 v[76:79], a[88:89], v[184:185], v[76:79]// 000000006748: D3F3004C 0D337158
	buffer_load_dwordx4 a[28:31], v33, s[24:27], 0 offen offset:3072// 000000006750: E05C1C00 80861C21
	v_mfma_f32_16x16x32_fp8_fp8 v[76:79], a[90:91], v[186:187], v[76:79]// 000000006758: D3F3004C 0D33755A
	v_mfma_f32_16x16x32_fp8_fp8 v[76:79], a[92:93], v[188:189], v[76:79]// 000000006760: D3F3004C 0D33795C
	v_mfma_f32_16x16x32_fp8_fp8 v[76:79], a[94:95], v[190:191], v[76:79]// 000000006768: D3F3004C 0D337D5E
	s_waitcnt vmcnt(12)                                        // 000000006770: BF8C0F7C
	v_mfma_f32_16x16x32_fp8_fp8 v[80:83], a[96:97], v[160:161], v[80:83]// 000000006774: D3F30050 0D434160
	buffer_load_dwordx4 a[32:35], v34, s[24:27], 0 offen       // 00000000677C: E05C1000 80862022
	v_mfma_f32_16x16x32_fp8_fp8 v[80:83], a[98:99], v[162:163], v[80:83]// 000000006784: D3F30050 0D434562
	v_mfma_f32_16x16x32_fp8_fp8 v[80:83], a[100:101], v[164:165], v[80:83]// 00000000678C: D3F30050 0D434964
	ds_read_b128 v[192:195], v2 offset:8320                    // 000000006794: D9FE2080 C0000002
	v_mfma_f32_16x16x32_fp8_fp8 v[80:83], a[102:103], v[166:167], v[80:83]// 00000000679C: D3F30050 0D434D66
	v_mfma_f32_16x16x32_fp8_fp8 v[80:83], a[104:105], v[168:169], v[80:83]// 0000000067A4: D3F30050 0D435168
	buffer_load_dwordx4 a[36:39], v34, s[24:27], 0 offen offset:1024// 0000000067AC: E05C1400 80862422
	v_mfma_f32_16x16x32_fp8_fp8 v[80:83], a[106:107], v[170:171], v[80:83]// 0000000067B4: D3F30050 0D43556A
	v_mfma_f32_16x16x32_fp8_fp8 v[80:83], a[108:109], v[172:173], v[80:83]// 0000000067BC: D3F30050 0D43596C
	ds_read_b128 v[196:199], v2 offset:8384                    // 0000000067C4: D9FE20C0 C4000002
	v_mfma_f32_16x16x32_fp8_fp8 v[80:83], a[110:111], v[174:175], v[80:83]// 0000000067CC: D3F30050 0D435D6E
	v_mfma_f32_16x16x32_fp8_fp8 v[84:87], a[96:97], v[176:177], v[84:87]// 0000000067D4: D3F30054 0D536160
	buffer_load_dwordx4 a[40:43], v34, s[24:27], 0 offen offset:2048// 0000000067DC: E05C1800 80862822
	v_mfma_f32_16x16x32_fp8_fp8 v[84:87], a[98:99], v[178:179], v[84:87]// 0000000067E4: D3F30054 0D536562
	v_mfma_f32_16x16x32_fp8_fp8 v[84:87], a[100:101], v[180:181], v[84:87]// 0000000067EC: D3F30054 0D536964
	ds_read_b128 v[200:203], v2 offset:8448                    // 0000000067F4: D9FE2100 C8000002
	v_mfma_f32_16x16x32_fp8_fp8 v[84:87], a[102:103], v[182:183], v[84:87]// 0000000067FC: D3F30054 0D536D66
	v_mfma_f32_16x16x32_fp8_fp8 v[84:87], a[104:105], v[184:185], v[84:87]// 000000006804: D3F30054 0D537168
	buffer_load_dwordx4 a[44:47], v34, s[24:27], 0 offen offset:3072// 00000000680C: E05C1C00 80862C22
	v_mfma_f32_16x16x32_fp8_fp8 v[84:87], a[106:107], v[186:187], v[84:87]// 000000006814: D3F30054 0D53756A
	v_mfma_f32_16x16x32_fp8_fp8 v[84:87], a[108:109], v[188:189], v[84:87]// 00000000681C: D3F30054 0D53796C
	ds_read_b128 v[204:207], v2 offset:8512                    // 000000006824: D9FE2140 CC000002
	v_mfma_f32_16x16x32_fp8_fp8 v[84:87], a[110:111], v[190:191], v[84:87]// 00000000682C: D3F30054 0D537D6E
	s_waitcnt vmcnt(12)                                        // 000000006834: BF8C0F7C
	v_mfma_f32_16x16x32_fp8_fp8 v[88:91], a[112:113], v[160:161], v[88:91]// 000000006838: D3F30058 0D634170
	buffer_load_dwordx4 a[48:51], v35, s[24:27], 0 offen       // 000000006840: E05C1000 80863023
	v_mfma_f32_16x16x32_fp8_fp8 v[88:91], a[114:115], v[162:163], v[88:91]// 000000006848: D3F30058 0D634572
	v_mfma_f32_16x16x32_fp8_fp8 v[88:91], a[116:117], v[164:165], v[88:91]// 000000006850: D3F30058 0D634974
	ds_read_b128 v[208:211], v2 offset:9344                    // 000000006858: D9FE2480 D0000002
	v_mfma_f32_16x16x32_fp8_fp8 v[88:91], a[118:119], v[166:167], v[88:91]// 000000006860: D3F30058 0D634D76
	v_mfma_f32_16x16x32_fp8_fp8 v[88:91], a[120:121], v[168:169], v[88:91]// 000000006868: D3F30058 0D635178
	buffer_load_dwordx4 a[52:55], v35, s[24:27], 0 offen offset:1024// 000000006870: E05C1400 80863423
	v_mfma_f32_16x16x32_fp8_fp8 v[88:91], a[122:123], v[170:171], v[88:91]// 000000006878: D3F30058 0D63557A
	v_mfma_f32_16x16x32_fp8_fp8 v[88:91], a[124:125], v[172:173], v[88:91]// 000000006880: D3F30058 0D63597C
	ds_read_b128 v[212:215], v2 offset:9408                    // 000000006888: D9FE24C0 D4000002
	v_mfma_f32_16x16x32_fp8_fp8 v[88:91], a[126:127], v[174:175], v[88:91]// 000000006890: D3F30058 0D635D7E
	v_mfma_f32_16x16x32_fp8_fp8 v[92:95], a[112:113], v[176:177], v[92:95]// 000000006898: D3F3005C 0D736170
	buffer_load_dwordx4 a[56:59], v35, s[24:27], 0 offen offset:2048// 0000000068A0: E05C1800 80863823
	v_mfma_f32_16x16x32_fp8_fp8 v[92:95], a[114:115], v[178:179], v[92:95]// 0000000068A8: D3F3005C 0D736572
	v_mfma_f32_16x16x32_fp8_fp8 v[92:95], a[116:117], v[180:181], v[92:95]// 0000000068B0: D3F3005C 0D736974
	ds_read_b128 v[216:219], v2 offset:9472                    // 0000000068B8: D9FE2500 D8000002
	v_mfma_f32_16x16x32_fp8_fp8 v[92:95], a[118:119], v[182:183], v[92:95]// 0000000068C0: D3F3005C 0D736D76
	v_mfma_f32_16x16x32_fp8_fp8 v[92:95], a[120:121], v[184:185], v[92:95]// 0000000068C8: D3F3005C 0D737178
	buffer_load_dwordx4 a[60:63], v35, s[24:27], 0 offen offset:3072// 0000000068D0: E05C1C00 80863C23
	v_mfma_f32_16x16x32_fp8_fp8 v[92:95], a[122:123], v[186:187], v[92:95]// 0000000068D8: D3F3005C 0D73757A
	v_mfma_f32_16x16x32_fp8_fp8 v[92:95], a[124:125], v[188:189], v[92:95]// 0000000068E0: D3F3005C 0D73797C
	ds_read_b128 v[220:223], v2 offset:9536                    // 0000000068E8: D9FE2540 DC000002
	v_mfma_f32_16x16x32_fp8_fp8 v[92:95], a[126:127], v[190:191], v[92:95]// 0000000068F0: D3F3005C 0D737D7E
	s_add_u32 s60, 0x200, s80                                  // 0000000068F8: 803C50FF 00000200
	s_cmp_lt_u32 s60, s81                                      // 000000006900: BF0A513C
	s_cselect_b32 s57, s57, 0                                  // 000000006904: 85398039
	s_add_u32 s60, 0x200, s80                                  // 000000006908: 803C50FF 00000200
	s_cmp_lt_u32 s60, s81                                      // 000000006910: BF0A513C
	s_cselect_b32 s58, s58, 0                                  // 000000006914: 853A803A
	s_add_u32 s20, s57, s20                                    // 000000006918: 80141439
	s_addc_u32 s21, 0, s21                                     // 00000000691C: 82151580
	s_add_u32 s24, s58, s24                                    // 000000006920: 8018183A
	s_addc_u32 s25, 0, s25                                     // 000000006924: 82191980
	s_add_u32 s92, s90, s92                                    // 000000006928: 805C5C5A
	s_addc_u32 s93, 0, s93                                     // 00000000692C: 825D5D80
	s_addk_i32 s80, 0x100                                      // 000000006930: B7500100
	s_cmp_lt_i32 s80, s81                                      // 000000006934: BF045150
	s_cbranch_scc0 label_1118                                  // 000000006938: BF840189
	s_waitcnt vmcnt(8) lgkmcnt(0)                              // 00000000693C: BF8C0078
	s_barrier                                                  // 000000006940: BF8A0000
	v_mfma_f32_16x16x32_fp8_fp8 v[128:131], a[0:1], v[192:193], v[128:131]// 000000006944: D3F30080 0E038100
	buffer_load_dwordx4 a[64:67], v32, s[92:95], 0 offen       // 00000000694C: E05C1000 80974020
	v_mfma_f32_16x16x32_fp8_fp8 v[128:131], a[2:3], v[194:195], v[128:131]// 000000006954: D3F30080 0E038502
	v_mfma_f32_16x16x32_fp8_fp8 v[128:131], a[4:5], v[196:197], v[128:131]// 00000000695C: D3F30080 0E038904
	buffer_load_dword v24, s[20:23], 0 offen lds               // 000000006964: E0511000 80050018
	s_add_u32 m0, 0x100, s50                                   // 00000000696C: 807C32FF 00000100
	v_mfma_f32_16x16x32_fp8_fp8 v[128:131], a[6:7], v[198:199], v[128:131]// 000000006974: D3F30080 0E038D06
	v_mfma_f32_16x16x32_fp8_fp8 v[128:131], a[8:9], v[200:201], v[128:131]// 00000000697C: D3F30080 0E039108
	buffer_load_dwordx4 a[68:71], v32, s[92:95], 0 offen offset:1024// 000000006984: E05C1400 80974420
	v_mfma_f32_16x16x32_fp8_fp8 v[128:131], a[10:11], v[202:203], v[128:131]// 00000000698C: D3F30080 0E03950A
	v_mfma_f32_16x16x32_fp8_fp8 v[128:131], a[12:13], v[204:205], v[128:131]// 000000006994: D3F30080 0E03990C
	buffer_load_dword v25, s[20:23], 0 offen lds               // 00000000699C: E0511000 80050019
	s_add_u32 m0, 0x200, s50                                   // 0000000069A4: 807C32FF 00000200
	v_mfma_f32_16x16x32_fp8_fp8 v[128:131], a[14:15], v[206:207], v[128:131]// 0000000069AC: D3F30080 0E039D0E
	v_mfma_f32_16x16x32_fp8_fp8 v[132:135], a[0:1], v[208:209], v[132:135]// 0000000069B4: D3F30084 0E13A100
	buffer_load_dwordx4 a[72:75], v32, s[92:95], 0 offen offset:2048// 0000000069BC: E05C1800 80974820
	v_mfma_f32_16x16x32_fp8_fp8 v[132:135], a[2:3], v[210:211], v[132:135]// 0000000069C4: D3F30084 0E13A502
	v_mfma_f32_16x16x32_fp8_fp8 v[132:135], a[4:5], v[212:213], v[132:135]// 0000000069CC: D3F30084 0E13A904
	buffer_load_dword v26, s[20:23], 0 offen lds               // 0000000069D4: E0511000 8005001A
	s_add_u32 m0, 0x300, s50                                   // 0000000069DC: 807C32FF 00000300
	v_mfma_f32_16x16x32_fp8_fp8 v[132:135], a[6:7], v[214:215], v[132:135]// 0000000069E4: D3F30084 0E13AD06
	v_mfma_f32_16x16x32_fp8_fp8 v[132:135], a[8:9], v[216:217], v[132:135]// 0000000069EC: D3F30084 0E13B108
	buffer_load_dwordx4 a[76:79], v32, s[92:95], 0 offen offset:3072// 0000000069F4: E05C1C00 80974C20
	v_mfma_f32_16x16x32_fp8_fp8 v[132:135], a[10:11], v[218:219], v[132:135]// 0000000069FC: D3F30084 0E13B50A
	v_mfma_f32_16x16x32_fp8_fp8 v[132:135], a[12:13], v[220:221], v[132:135]// 000000006A04: D3F30084 0E13B90C
	buffer_load_dword v27, s[20:23], 0 offen lds               // 000000006A0C: E0511000 8005001B
	s_add_u32 m0, 0x400, s50                                   // 000000006A14: 807C32FF 00000400
	v_mfma_f32_16x16x32_fp8_fp8 v[132:135], a[14:15], v[222:223], v[132:135]// 000000006A1C: D3F30084 0E13BD0E
	v_mfma_f32_16x16x32_fp8_fp8 v[136:139], a[16:17], v[192:193], v[136:139]// 000000006A24: D3F30088 0E238110
	buffer_load_dwordx4 a[80:83], v33, s[92:95], 0 offen       // 000000006A2C: E05C1000 80975021
	v_mfma_f32_16x16x32_fp8_fp8 v[136:139], a[18:19], v[194:195], v[136:139]// 000000006A34: D3F30088 0E238512
	v_mfma_f32_16x16x32_fp8_fp8 v[136:139], a[20:21], v[196:197], v[136:139]// 000000006A3C: D3F30088 0E238914
	buffer_load_dword v28, s[20:23], 0 offen lds               // 000000006A44: E0511000 8005001C
	s_add_u32 m0, 0x500, s50                                   // 000000006A4C: 807C32FF 00000500
	v_mfma_f32_16x16x32_fp8_fp8 v[136:139], a[22:23], v[198:199], v[136:139]// 000000006A54: D3F30088 0E238D16
	v_mfma_f32_16x16x32_fp8_fp8 v[136:139], a[24:25], v[200:201], v[136:139]// 000000006A5C: D3F30088 0E239118
	buffer_load_dwordx4 a[84:87], v33, s[92:95], 0 offen offset:1024// 000000006A64: E05C1400 80975421
	v_mfma_f32_16x16x32_fp8_fp8 v[136:139], a[26:27], v[202:203], v[136:139]// 000000006A6C: D3F30088 0E23951A
	v_mfma_f32_16x16x32_fp8_fp8 v[136:139], a[28:29], v[204:205], v[136:139]// 000000006A74: D3F30088 0E23991C
	buffer_load_dword v29, s[20:23], 0 offen lds               // 000000006A7C: E0511000 8005001D
	s_add_u32 m0, 0x600, s50                                   // 000000006A84: 807C32FF 00000600
	v_mfma_f32_16x16x32_fp8_fp8 v[136:139], a[30:31], v[206:207], v[136:139]// 000000006A8C: D3F30088 0E239D1E
	v_mfma_f32_16x16x32_fp8_fp8 v[140:143], a[16:17], v[208:209], v[140:143]// 000000006A94: D3F3008C 0E33A110
	buffer_load_dwordx4 a[88:91], v33, s[92:95], 0 offen offset:2048// 000000006A9C: E05C1800 80975821
	v_mfma_f32_16x16x32_fp8_fp8 v[140:143], a[18:19], v[210:211], v[140:143]// 000000006AA4: D3F3008C 0E33A512
	v_mfma_f32_16x16x32_fp8_fp8 v[140:143], a[20:21], v[212:213], v[140:143]// 000000006AAC: D3F3008C 0E33A914
	buffer_load_dword v30, s[20:23], 0 offen lds               // 000000006AB4: E0511000 8005001E
	s_add_u32 m0, 0x700, s50                                   // 000000006ABC: 807C32FF 00000700
	v_mfma_f32_16x16x32_fp8_fp8 v[140:143], a[22:23], v[214:215], v[140:143]// 000000006AC4: D3F3008C 0E33AD16
	v_mfma_f32_16x16x32_fp8_fp8 v[140:143], a[24:25], v[216:217], v[140:143]// 000000006ACC: D3F3008C 0E33B118
	buffer_load_dwordx4 a[92:95], v33, s[92:95], 0 offen offset:3072// 000000006AD4: E05C1C00 80975C21
	v_mfma_f32_16x16x32_fp8_fp8 v[140:143], a[26:27], v[218:219], v[140:143]// 000000006ADC: D3F3008C 0E33B51A
	v_mfma_f32_16x16x32_fp8_fp8 v[140:143], a[28:29], v[220:221], v[140:143]// 000000006AE4: D3F3008C 0E33B91C
	buffer_load_dword v31, s[20:23], 0 offen lds               // 000000006AEC: E0511000 8005001F
	s_add_u32 m0, 0, s51                                       // 000000006AF4: 807C3380
	v_mfma_f32_16x16x32_fp8_fp8 v[140:143], a[30:31], v[222:223], v[140:143]// 000000006AF8: D3F3008C 0E33BD1E
	s_waitcnt vmcnt(20)                                        // 000000006B00: BF8C4F74
	v_mfma_f32_16x16x32_fp8_fp8 v[144:147], a[32:33], v[192:193], v[144:147]// 000000006B04: D3F30090 0E438120
	buffer_load_dwordx4 a[96:99], v34, s[92:95], 0 offen       // 000000006B0C: E05C1000 80976022
	v_mfma_f32_16x16x32_fp8_fp8 v[144:147], a[34:35], v[194:195], v[144:147]// 000000006B14: D3F30090 0E438522
	v_mfma_f32_16x16x32_fp8_fp8 v[144:147], a[36:37], v[196:197], v[144:147]// 000000006B1C: D3F30090 0E438924
	v_mfma_f32_16x16x32_fp8_fp8 v[144:147], a[38:39], v[198:199], v[144:147]// 000000006B24: D3F30090 0E438D26
	v_mfma_f32_16x16x32_fp8_fp8 v[144:147], a[40:41], v[200:201], v[144:147]// 000000006B2C: D3F30090 0E439128
	buffer_load_dwordx4 a[100:103], v34, s[92:95], 0 offen offset:1024// 000000006B34: E05C1400 80976422
	v_mfma_f32_16x16x32_fp8_fp8 v[144:147], a[42:43], v[202:203], v[144:147]// 000000006B3C: D3F30090 0E43952A
	v_mfma_f32_16x16x32_fp8_fp8 v[144:147], a[44:45], v[204:205], v[144:147]// 000000006B44: D3F30090 0E43992C
	v_mfma_f32_16x16x32_fp8_fp8 v[144:147], a[46:47], v[206:207], v[144:147]// 000000006B4C: D3F30090 0E439D2E
	v_mfma_f32_16x16x32_fp8_fp8 v[148:151], a[32:33], v[208:209], v[148:151]// 000000006B54: D3F30094 0E53A120
	buffer_load_dwordx4 a[104:107], v34, s[92:95], 0 offen offset:2048// 000000006B5C: E05C1800 80976822
	v_mfma_f32_16x16x32_fp8_fp8 v[148:151], a[34:35], v[210:211], v[148:151]// 000000006B64: D3F30094 0E53A522
	v_mfma_f32_16x16x32_fp8_fp8 v[148:151], a[36:37], v[212:213], v[148:151]// 000000006B6C: D3F30094 0E53A924
	v_mfma_f32_16x16x32_fp8_fp8 v[148:151], a[38:39], v[214:215], v[148:151]// 000000006B74: D3F30094 0E53AD26
	v_mfma_f32_16x16x32_fp8_fp8 v[148:151], a[40:41], v[216:217], v[148:151]// 000000006B7C: D3F30094 0E53B128
	buffer_load_dwordx4 a[108:111], v34, s[92:95], 0 offen offset:3072// 000000006B84: E05C1C00 80976C22
	v_mfma_f32_16x16x32_fp8_fp8 v[148:151], a[42:43], v[218:219], v[148:151]// 000000006B8C: D3F30094 0E53B52A
	v_mfma_f32_16x16x32_fp8_fp8 v[148:151], a[44:45], v[220:221], v[148:151]// 000000006B94: D3F30094 0E53B92C
	v_mfma_f32_16x16x32_fp8_fp8 v[148:151], a[46:47], v[222:223], v[148:151]// 000000006B9C: D3F30094 0E53BD2E
	s_waitcnt vmcnt(20)                                        // 000000006BA4: BF8C4F74
	v_mfma_f32_16x16x32_fp8_fp8 v[152:155], a[48:49], v[192:193], v[152:155]// 000000006BA8: D3F30098 0E638130
	buffer_load_dwordx4 a[112:115], v35, s[92:95], 0 offen     // 000000006BB0: E05C1000 80977023
	v_mfma_f32_16x16x32_fp8_fp8 v[152:155], a[50:51], v[194:195], v[152:155]// 000000006BB8: D3F30098 0E638532
	v_mfma_f32_16x16x32_fp8_fp8 v[152:155], a[52:53], v[196:197], v[152:155]// 000000006BC0: D3F30098 0E638934
	v_mfma_f32_16x16x32_fp8_fp8 v[152:155], a[54:55], v[198:199], v[152:155]// 000000006BC8: D3F30098 0E638D36
	v_mfma_f32_16x16x32_fp8_fp8 v[152:155], a[56:57], v[200:201], v[152:155]// 000000006BD0: D3F30098 0E639138
	buffer_load_dwordx4 a[116:119], v35, s[92:95], 0 offen offset:1024// 000000006BD8: E05C1400 80977423
	v_mfma_f32_16x16x32_fp8_fp8 v[152:155], a[58:59], v[202:203], v[152:155]// 000000006BE0: D3F30098 0E63953A
	v_mfma_f32_16x16x32_fp8_fp8 v[152:155], a[60:61], v[204:205], v[152:155]// 000000006BE8: D3F30098 0E63993C
	v_mfma_f32_16x16x32_fp8_fp8 v[152:155], a[62:63], v[206:207], v[152:155]// 000000006BF0: D3F30098 0E639D3E
	v_mfma_f32_16x16x32_fp8_fp8 v[156:159], a[48:49], v[208:209], v[156:159]// 000000006BF8: D3F3009C 0E73A130
	buffer_load_dwordx4 a[120:123], v35, s[92:95], 0 offen offset:2048// 000000006C00: E05C1800 80977823
	v_mfma_f32_16x16x32_fp8_fp8 v[156:159], a[50:51], v[210:211], v[156:159]// 000000006C08: D3F3009C 0E73A532
	v_mfma_f32_16x16x32_fp8_fp8 v[156:159], a[52:53], v[212:213], v[156:159]// 000000006C10: D3F3009C 0E73A934
	v_mfma_f32_16x16x32_fp8_fp8 v[156:159], a[54:55], v[214:215], v[156:159]// 000000006C18: D3F3009C 0E73AD36
	v_mfma_f32_16x16x32_fp8_fp8 v[156:159], a[56:57], v[216:217], v[156:159]// 000000006C20: D3F3009C 0E73B138
	buffer_load_dwordx4 a[124:127], v35, s[92:95], 0 offen offset:3072// 000000006C28: E05C1C00 80977C23
	v_mfma_f32_16x16x32_fp8_fp8 v[156:159], a[58:59], v[218:219], v[156:159]// 000000006C30: D3F3009C 0E73B53A
	v_mfma_f32_16x16x32_fp8_fp8 v[156:159], a[60:61], v[220:221], v[156:159]// 000000006C38: D3F3009C 0E73B93C
	v_mfma_f32_16x16x32_fp8_fp8 v[156:159], a[62:63], v[222:223], v[156:159]// 000000006C40: D3F3009C 0E73BD3E
	s_waitcnt vmcnt(8)                                         // 000000006C48: BF8C0F78
	s_barrier                                                  // 000000006C4C: BF8A0000
	v_mfma_f32_16x16x32_fp8_fp8 v[64:67], a[64:65], v[192:193], v[64:67]// 000000006C50: D3F30040 0D038140
	buffer_load_dwordx4 a[0:3], v32, s[24:27], 0 offen         // 000000006C58: E05C1000 80860020
	v_mfma_f32_16x16x32_fp8_fp8 v[64:67], a[66:67], v[194:195], v[64:67]// 000000006C60: D3F30040 0D038542
	v_mfma_f32_16x16x32_fp8_fp8 v[64:67], a[68:69], v[196:197], v[64:67]// 000000006C68: D3F30040 0D038944
	v_mfma_f32_16x16x32_fp8_fp8 v[64:67], a[70:71], v[198:199], v[64:67]// 000000006C70: D3F30040 0D038D46
	v_mfma_f32_16x16x32_fp8_fp8 v[64:67], a[72:73], v[200:201], v[64:67]// 000000006C78: D3F30040 0D039148
	buffer_load_dwordx4 a[4:7], v32, s[24:27], 0 offen offset:1024// 000000006C80: E05C1400 80860420
	v_mfma_f32_16x16x32_fp8_fp8 v[64:67], a[74:75], v[202:203], v[64:67]// 000000006C88: D3F30040 0D03954A
	v_mfma_f32_16x16x32_fp8_fp8 v[64:67], a[76:77], v[204:205], v[64:67]// 000000006C90: D3F30040 0D03994C
	v_mfma_f32_16x16x32_fp8_fp8 v[64:67], a[78:79], v[206:207], v[64:67]// 000000006C98: D3F30040 0D039D4E
	v_mfma_f32_16x16x32_fp8_fp8 v[68:71], a[64:65], v[208:209], v[68:71]// 000000006CA0: D3F30044 0D13A140
	buffer_load_dwordx4 a[8:11], v32, s[24:27], 0 offen offset:2048// 000000006CA8: E05C1800 80860820
	v_mfma_f32_16x16x32_fp8_fp8 v[68:71], a[66:67], v[210:211], v[68:71]// 000000006CB0: D3F30044 0D13A542
	v_mfma_f32_16x16x32_fp8_fp8 v[68:71], a[68:69], v[212:213], v[68:71]// 000000006CB8: D3F30044 0D13A944
	v_mfma_f32_16x16x32_fp8_fp8 v[68:71], a[70:71], v[214:215], v[68:71]// 000000006CC0: D3F30044 0D13AD46
	v_mfma_f32_16x16x32_fp8_fp8 v[68:71], a[72:73], v[216:217], v[68:71]// 000000006CC8: D3F30044 0D13B148
	buffer_load_dwordx4 a[12:15], v32, s[24:27], 0 offen offset:3072// 000000006CD0: E05C1C00 80860C20
	v_mfma_f32_16x16x32_fp8_fp8 v[68:71], a[74:75], v[218:219], v[68:71]// 000000006CD8: D3F30044 0D13B54A
	v_mfma_f32_16x16x32_fp8_fp8 v[68:71], a[76:77], v[220:221], v[68:71]// 000000006CE0: D3F30044 0D13B94C
	v_mfma_f32_16x16x32_fp8_fp8 v[68:71], a[78:79], v[222:223], v[68:71]// 000000006CE8: D3F30044 0D13BD4E
	v_mfma_f32_16x16x32_fp8_fp8 v[72:75], a[80:81], v[192:193], v[72:75]// 000000006CF0: D3F30048 0D238150
	buffer_load_dwordx4 a[16:19], v33, s[24:27], 0 offen       // 000000006CF8: E05C1000 80861021
	v_mfma_f32_16x16x32_fp8_fp8 v[72:75], a[82:83], v[194:195], v[72:75]// 000000006D00: D3F30048 0D238552
	v_mfma_f32_16x16x32_fp8_fp8 v[72:75], a[84:85], v[196:197], v[72:75]// 000000006D08: D3F30048 0D238954
	v_mfma_f32_16x16x32_fp8_fp8 v[72:75], a[86:87], v[198:199], v[72:75]// 000000006D10: D3F30048 0D238D56
	v_mfma_f32_16x16x32_fp8_fp8 v[72:75], a[88:89], v[200:201], v[72:75]// 000000006D18: D3F30048 0D239158
	buffer_load_dwordx4 a[20:23], v33, s[24:27], 0 offen offset:1024// 000000006D20: E05C1400 80861421
	v_mfma_f32_16x16x32_fp8_fp8 v[72:75], a[90:91], v[202:203], v[72:75]// 000000006D28: D3F30048 0D23955A
	v_mfma_f32_16x16x32_fp8_fp8 v[72:75], a[92:93], v[204:205], v[72:75]// 000000006D30: D3F30048 0D23995C
	v_mfma_f32_16x16x32_fp8_fp8 v[72:75], a[94:95], v[206:207], v[72:75]// 000000006D38: D3F30048 0D239D5E
	v_mfma_f32_16x16x32_fp8_fp8 v[76:79], a[80:81], v[208:209], v[76:79]// 000000006D40: D3F3004C 0D33A150
	buffer_load_dwordx4 a[24:27], v33, s[24:27], 0 offen offset:2048// 000000006D48: E05C1800 80861821
	v_mfma_f32_16x16x32_fp8_fp8 v[76:79], a[82:83], v[210:211], v[76:79]// 000000006D50: D3F3004C 0D33A552
	v_mfma_f32_16x16x32_fp8_fp8 v[76:79], a[84:85], v[212:213], v[76:79]// 000000006D58: D3F3004C 0D33A954
	v_mfma_f32_16x16x32_fp8_fp8 v[76:79], a[86:87], v[214:215], v[76:79]// 000000006D60: D3F3004C 0D33AD56
	v_mfma_f32_16x16x32_fp8_fp8 v[76:79], a[88:89], v[216:217], v[76:79]// 000000006D68: D3F3004C 0D33B158
	buffer_load_dwordx4 a[28:31], v33, s[24:27], 0 offen offset:3072// 000000006D70: E05C1C00 80861C21
	v_mfma_f32_16x16x32_fp8_fp8 v[76:79], a[90:91], v[218:219], v[76:79]// 000000006D78: D3F3004C 0D33B55A
	v_mfma_f32_16x16x32_fp8_fp8 v[76:79], a[92:93], v[220:221], v[76:79]// 000000006D80: D3F3004C 0D33B95C
	v_mfma_f32_16x16x32_fp8_fp8 v[76:79], a[94:95], v[222:223], v[76:79]// 000000006D88: D3F3004C 0D33BD5E
	s_waitcnt vmcnt(12)                                        // 000000006D90: BF8C0F7C
	v_mfma_f32_16x16x32_fp8_fp8 v[80:83], a[96:97], v[192:193], v[80:83]// 000000006D94: D3F30050 0D438160
	buffer_load_dwordx4 a[32:35], v34, s[24:27], 0 offen       // 000000006D9C: E05C1000 80862022
	v_mfma_f32_16x16x32_fp8_fp8 v[80:83], a[98:99], v[194:195], v[80:83]// 000000006DA4: D3F30050 0D438562
	v_mfma_f32_16x16x32_fp8_fp8 v[80:83], a[100:101], v[196:197], v[80:83]// 000000006DAC: D3F30050 0D438964
	ds_read_b128 v[160:163], v2                                // 000000006DB4: D9FE0000 A0000002
	v_mfma_f32_16x16x32_fp8_fp8 v[80:83], a[102:103], v[198:199], v[80:83]// 000000006DBC: D3F30050 0D438D66
	v_mfma_f32_16x16x32_fp8_fp8 v[80:83], a[104:105], v[200:201], v[80:83]// 000000006DC4: D3F30050 0D439168
	buffer_load_dwordx4 a[36:39], v34, s[24:27], 0 offen offset:1024// 000000006DCC: E05C1400 80862422
	v_mfma_f32_16x16x32_fp8_fp8 v[80:83], a[106:107], v[202:203], v[80:83]// 000000006DD4: D3F30050 0D43956A
	v_mfma_f32_16x16x32_fp8_fp8 v[80:83], a[108:109], v[204:205], v[80:83]// 000000006DDC: D3F30050 0D43996C
	ds_read_b128 v[164:167], v2 offset:64                      // 000000006DE4: D9FE0040 A4000002
	v_mfma_f32_16x16x32_fp8_fp8 v[80:83], a[110:111], v[206:207], v[80:83]// 000000006DEC: D3F30050 0D439D6E
	v_mfma_f32_16x16x32_fp8_fp8 v[84:87], a[96:97], v[208:209], v[84:87]// 000000006DF4: D3F30054 0D53A160
	buffer_load_dwordx4 a[40:43], v34, s[24:27], 0 offen offset:2048// 000000006DFC: E05C1800 80862822
	v_mfma_f32_16x16x32_fp8_fp8 v[84:87], a[98:99], v[210:211], v[84:87]// 000000006E04: D3F30054 0D53A562
	v_mfma_f32_16x16x32_fp8_fp8 v[84:87], a[100:101], v[212:213], v[84:87]// 000000006E0C: D3F30054 0D53A964
	ds_read_b128 v[168:171], v2 offset:128                     // 000000006E14: D9FE0080 A8000002
	v_mfma_f32_16x16x32_fp8_fp8 v[84:87], a[102:103], v[214:215], v[84:87]// 000000006E1C: D3F30054 0D53AD66
	v_mfma_f32_16x16x32_fp8_fp8 v[84:87], a[104:105], v[216:217], v[84:87]// 000000006E24: D3F30054 0D53B168
	buffer_load_dwordx4 a[44:47], v34, s[24:27], 0 offen offset:3072// 000000006E2C: E05C1C00 80862C22
	v_mfma_f32_16x16x32_fp8_fp8 v[84:87], a[106:107], v[218:219], v[84:87]// 000000006E34: D3F30054 0D53B56A
	v_mfma_f32_16x16x32_fp8_fp8 v[84:87], a[108:109], v[220:221], v[84:87]// 000000006E3C: D3F30054 0D53B96C
	ds_read_b128 v[172:175], v2 offset:192                     // 000000006E44: D9FE00C0 AC000002
	v_mfma_f32_16x16x32_fp8_fp8 v[84:87], a[110:111], v[222:223], v[84:87]// 000000006E4C: D3F30054 0D53BD6E
	s_waitcnt vmcnt(12)                                        // 000000006E54: BF8C0F7C
	v_mfma_f32_16x16x32_fp8_fp8 v[88:91], a[112:113], v[192:193], v[88:91]// 000000006E58: D3F30058 0D638170
	buffer_load_dwordx4 a[48:51], v35, s[24:27], 0 offen       // 000000006E60: E05C1000 80863023
	v_mfma_f32_16x16x32_fp8_fp8 v[88:91], a[114:115], v[194:195], v[88:91]// 000000006E68: D3F30058 0D638572
	v_mfma_f32_16x16x32_fp8_fp8 v[88:91], a[116:117], v[196:197], v[88:91]// 000000006E70: D3F30058 0D638974
	ds_read_b128 v[176:179], v2 offset:1024                    // 000000006E78: D9FE0400 B0000002
	v_mfma_f32_16x16x32_fp8_fp8 v[88:91], a[118:119], v[198:199], v[88:91]// 000000006E80: D3F30058 0D638D76
	v_mfma_f32_16x16x32_fp8_fp8 v[88:91], a[120:121], v[200:201], v[88:91]// 000000006E88: D3F30058 0D639178
	buffer_load_dwordx4 a[52:55], v35, s[24:27], 0 offen offset:1024// 000000006E90: E05C1400 80863423
	v_mfma_f32_16x16x32_fp8_fp8 v[88:91], a[122:123], v[202:203], v[88:91]// 000000006E98: D3F30058 0D63957A
	v_mfma_f32_16x16x32_fp8_fp8 v[88:91], a[124:125], v[204:205], v[88:91]// 000000006EA0: D3F30058 0D63997C
	ds_read_b128 v[180:183], v2 offset:1088                    // 000000006EA8: D9FE0440 B4000002
	v_mfma_f32_16x16x32_fp8_fp8 v[88:91], a[126:127], v[206:207], v[88:91]// 000000006EB0: D3F30058 0D639D7E
	v_mfma_f32_16x16x32_fp8_fp8 v[92:95], a[112:113], v[208:209], v[92:95]// 000000006EB8: D3F3005C 0D73A170
	buffer_load_dwordx4 a[56:59], v35, s[24:27], 0 offen offset:2048// 000000006EC0: E05C1800 80863823
	v_mfma_f32_16x16x32_fp8_fp8 v[92:95], a[114:115], v[210:211], v[92:95]// 000000006EC8: D3F3005C 0D73A572
	v_mfma_f32_16x16x32_fp8_fp8 v[92:95], a[116:117], v[212:213], v[92:95]// 000000006ED0: D3F3005C 0D73A974
	ds_read_b128 v[184:187], v2 offset:1152                    // 000000006ED8: D9FE0480 B8000002
	v_mfma_f32_16x16x32_fp8_fp8 v[92:95], a[118:119], v[214:215], v[92:95]// 000000006EE0: D3F3005C 0D73AD76
	v_mfma_f32_16x16x32_fp8_fp8 v[92:95], a[120:121], v[216:217], v[92:95]// 000000006EE8: D3F3005C 0D73B178
	buffer_load_dwordx4 a[60:63], v35, s[24:27], 0 offen offset:3072// 000000006EF0: E05C1C00 80863C23
	v_mfma_f32_16x16x32_fp8_fp8 v[92:95], a[122:123], v[218:219], v[92:95]// 000000006EF8: D3F3005C 0D73B57A
	v_mfma_f32_16x16x32_fp8_fp8 v[92:95], a[124:125], v[220:221], v[92:95]// 000000006F00: D3F3005C 0D73B97C
	ds_read_b128 v[188:191], v2 offset:1216                    // 000000006F08: D9FE04C0 BC000002
	v_mfma_f32_16x16x32_fp8_fp8 v[92:95], a[126:127], v[222:223], v[92:95]// 000000006F10: D3F3005C 0D73BD7E
	s_add_u32 s60, 0x200, s80                                  // 000000006F18: 803C50FF 00000200
	s_cmp_lt_u32 s60, s81                                      // 000000006F20: BF0A513C
	s_cselect_b32 s57, s57, 0                                  // 000000006F24: 85398039
	s_add_u32 s60, 0x200, s80                                  // 000000006F28: 803C50FF 00000200
	s_cmp_lt_u32 s60, s81                                      // 000000006F30: BF0A513C
	s_cselect_b32 s58, s58, 0                                  // 000000006F34: 853A803A
	s_add_u32 s20, s57, s20                                    // 000000006F38: 80141439
	s_addc_u32 s21, 0, s21                                     // 000000006F3C: 82151580
	s_add_u32 s24, s58, s24                                    // 000000006F40: 8018183A
	s_addc_u32 s25, 0, s25                                     // 000000006F44: 82191980
	s_add_u32 s92, s90, s92                                    // 000000006F48: 805C5C5A
	s_addc_u32 s93, 0, s93                                     // 000000006F4C: 825D5D80
	s_addk_i32 s80, 0x100                                      // 000000006F50: B7500100
	s_cmp_lt_i32 s80, s81                                      // 000000006F54: BF045150
	s_cbranch_scc0 label_1118                                  // 000000006F58: BF840001
	s_branch label_0E07                                        // 000000006F5C: BF82FCEF

0000000000006f60 <label_1118>:
	s_mov_b32 s36, -1                                          // 000000006F60: BEA400C1
	s_mov_b32 s37, -1                                          // 000000006F64: BEA500C1
	s_mov_b64 s[60:61], 0                                      // 000000006F68: BEBC0180
	s_cmp_lt_u32 s82, s66                                      // 000000006F6C: BF0A4252
	s_cselect_b64 s[20:21], s[36:37], s[60:61]                 // 000000006F70: 85943C24
	s_cmp_lt_u32 s83, s66                                      // 000000006F74: BF0A4253
	s_cselect_b64 s[22:23], s[36:37], s[60:61]                 // 000000006F78: 85963C24
	s_cmp_lt_u32 s84, s66                                      // 000000006F7C: BF0A4254
	s_cselect_b64 s[24:25], s[36:37], s[60:61]                 // 000000006F80: 85983C24
	s_cmp_lt_u32 s85, s66                                      // 000000006F84: BF0A4255
	s_cselect_b64 s[26:27], s[36:37], s[60:61]                 // 000000006F88: 859A3C24
	s_cmp_lt_u32 s86, s66                                      // 000000006F8C: BF0A4256
	s_cselect_b64 s[28:29], s[36:37], s[60:61]                 // 000000006F90: 859C3C24
	s_cmp_lt_u32 s87, s66                                      // 000000006F94: BF0A4257
	s_cselect_b64 s[30:31], s[36:37], s[60:61]                 // 000000006F98: 859E3C24
	s_cmp_lt_u32 s88, s66                                      // 000000006F9C: BF0A4258
	s_cselect_b64 s[32:33], s[36:37], s[60:61]                 // 000000006FA0: 85A03C24
	s_cmp_lt_u32 s89, s66                                      // 000000006FA4: BF0A4259
	s_cselect_b64 s[34:35], s[36:37], s[60:61]                 // 000000006FA8: 85A23C24
	v_mul_f32_e32 v128, v13, v128                              // 000000006FAC: 0B01010D
	v_mul_f32_e32 v129, v13, v129                              // 000000006FB0: 0B03030D
	v_mul_f32_e32 v130, v13, v130                              // 000000006FB4: 0B05050D
	v_mul_f32_e32 v131, v13, v131                              // 000000006FB8: 0B07070D
	v_mul_f32_dpp v128, v15, v128 row_newbcast:0 row_mask:0xf bank_mask:0xf// 000000006FBC: 0B0100FA FF01500F
	v_mul_f32_dpp v129, v15, v129 row_newbcast:1 row_mask:0xf bank_mask:0xf// 000000006FC4: 0B0302FA FF01510F
	v_mul_f32_dpp v130, v15, v130 row_newbcast:2 row_mask:0xf bank_mask:0xf// 000000006FCC: 0B0504FA FF01520F
	v_mul_f32_dpp v131, v15, v131 row_newbcast:3 row_mask:0xf bank_mask:0xf// 000000006FD4: 0B0706FA FF01530F
	v_mul_f32_e32 v132, v14, v132                              // 000000006FDC: 0B09090E
	v_mul_f32_e32 v133, v14, v133                              // 000000006FE0: 0B0B0B0E
	v_mul_f32_e32 v134, v14, v134                              // 000000006FE4: 0B0D0D0E
	v_mul_f32_e32 v135, v14, v135                              // 000000006FE8: 0B0F0F0E
	v_mul_f32_dpp v132, v15, v132 row_newbcast:0 row_mask:0xf bank_mask:0xf// 000000006FEC: 0B0908FA FF01500F
	v_mul_f32_dpp v133, v15, v133 row_newbcast:1 row_mask:0xf bank_mask:0xf// 000000006FF4: 0B0B0AFA FF01510F
	v_mul_f32_dpp v134, v15, v134 row_newbcast:2 row_mask:0xf bank_mask:0xf// 000000006FFC: 0B0D0CFA FF01520F
	v_mul_f32_dpp v135, v15, v135 row_newbcast:3 row_mask:0xf bank_mask:0xf// 000000007004: 0B0F0EFA FF01530F
	v_mul_f32_e32 v136, v13, v136                              // 00000000700C: 0B11110D
	v_mul_f32_e32 v137, v13, v137                              // 000000007010: 0B13130D
	v_mul_f32_e32 v138, v13, v138                              // 000000007014: 0B15150D
	v_mul_f32_e32 v139, v13, v139                              // 000000007018: 0B17170D
	v_mul_f32_dpp v136, v15, v136 row_newbcast:4 row_mask:0xf bank_mask:0xf// 00000000701C: 0B1110FA FF01540F
	v_mul_f32_dpp v137, v15, v137 row_newbcast:5 row_mask:0xf bank_mask:0xf// 000000007024: 0B1312FA FF01550F
	v_mul_f32_dpp v138, v15, v138 row_newbcast:6 row_mask:0xf bank_mask:0xf// 00000000702C: 0B1514FA FF01560F
	v_mul_f32_dpp v139, v15, v139 row_newbcast:7 row_mask:0xf bank_mask:0xf// 000000007034: 0B1716FA FF01570F
	v_mul_f32_e32 v140, v14, v140                              // 00000000703C: 0B19190E
	v_mul_f32_e32 v141, v14, v141                              // 000000007040: 0B1B1B0E
	v_mul_f32_e32 v142, v14, v142                              // 000000007044: 0B1D1D0E
	v_mul_f32_e32 v143, v14, v143                              // 000000007048: 0B1F1F0E
	v_mul_f32_dpp v140, v15, v140 row_newbcast:4 row_mask:0xf bank_mask:0xf// 00000000704C: 0B1918FA FF01540F
	v_mul_f32_dpp v141, v15, v141 row_newbcast:5 row_mask:0xf bank_mask:0xf// 000000007054: 0B1B1AFA FF01550F
	v_mul_f32_dpp v142, v15, v142 row_newbcast:6 row_mask:0xf bank_mask:0xf// 00000000705C: 0B1D1CFA FF01560F
	v_mul_f32_dpp v143, v15, v143 row_newbcast:7 row_mask:0xf bank_mask:0xf// 000000007064: 0B1F1EFA FF01570F
	v_mul_f32_e32 v144, v13, v144                              // 00000000706C: 0B21210D
	v_mul_f32_e32 v145, v13, v145                              // 000000007070: 0B23230D
	v_mul_f32_e32 v146, v13, v146                              // 000000007074: 0B25250D
	v_mul_f32_e32 v147, v13, v147                              // 000000007078: 0B27270D
	v_mul_f32_dpp v144, v15, v144 row_newbcast:8 row_mask:0xf bank_mask:0xf// 00000000707C: 0B2120FA FF01580F
	v_mul_f32_dpp v145, v15, v145 row_newbcast:9 row_mask:0xf bank_mask:0xf// 000000007084: 0B2322FA FF01590F
	v_mul_f32_dpp v146, v15, v146 row_newbcast:10 row_mask:0xf bank_mask:0xf// 00000000708C: 0B2524FA FF015A0F
	v_mul_f32_dpp v147, v15, v147 row_newbcast:11 row_mask:0xf bank_mask:0xf// 000000007094: 0B2726FA FF015B0F
	v_mul_f32_e32 v148, v14, v148                              // 00000000709C: 0B29290E
	v_mul_f32_e32 v149, v14, v149                              // 0000000070A0: 0B2B2B0E
	v_mul_f32_e32 v150, v14, v150                              // 0000000070A4: 0B2D2D0E
	v_mul_f32_e32 v151, v14, v151                              // 0000000070A8: 0B2F2F0E
	v_mul_f32_dpp v148, v15, v148 row_newbcast:8 row_mask:0xf bank_mask:0xf// 0000000070AC: 0B2928FA FF01580F
	v_mul_f32_dpp v149, v15, v149 row_newbcast:9 row_mask:0xf bank_mask:0xf// 0000000070B4: 0B2B2AFA FF01590F
	v_mul_f32_dpp v150, v15, v150 row_newbcast:10 row_mask:0xf bank_mask:0xf// 0000000070BC: 0B2D2CFA FF015A0F
	v_mul_f32_dpp v151, v15, v151 row_newbcast:11 row_mask:0xf bank_mask:0xf// 0000000070C4: 0B2F2EFA FF015B0F
	v_mul_f32_e32 v152, v13, v152                              // 0000000070CC: 0B31310D
	v_mul_f32_e32 v153, v13, v153                              // 0000000070D0: 0B33330D
	v_mul_f32_e32 v154, v13, v154                              // 0000000070D4: 0B35350D
	v_mul_f32_e32 v155, v13, v155                              // 0000000070D8: 0B37370D
	v_mul_f32_dpp v152, v15, v152 row_newbcast:12 row_mask:0xf bank_mask:0xf// 0000000070DC: 0B3130FA FF015C0F
	v_mul_f32_dpp v153, v15, v153 row_newbcast:13 row_mask:0xf bank_mask:0xf// 0000000070E4: 0B3332FA FF015D0F
	v_mul_f32_dpp v154, v15, v154 row_newbcast:14 row_mask:0xf bank_mask:0xf// 0000000070EC: 0B3534FA FF015E0F
	v_mul_f32_dpp v155, v15, v155 row_newbcast:15 row_mask:0xf bank_mask:0xf// 0000000070F4: 0B3736FA FF015F0F
	v_mul_f32_e32 v156, v14, v156                              // 0000000070FC: 0B39390E
	v_mul_f32_e32 v157, v14, v157                              // 000000007100: 0B3B3B0E
	v_mul_f32_e32 v158, v14, v158                              // 000000007104: 0B3D3D0E
	v_mul_f32_e32 v159, v14, v159                              // 000000007108: 0B3F3F0E
	v_mul_f32_dpp v156, v15, v156 row_newbcast:12 row_mask:0xf bank_mask:0xf// 00000000710C: 0B3938FA FF015C0F
	v_mul_f32_dpp v157, v15, v157 row_newbcast:13 row_mask:0xf bank_mask:0xf// 000000007114: 0B3B3AFA FF015D0F
	v_mul_f32_dpp v158, v15, v158 row_newbcast:14 row_mask:0xf bank_mask:0xf// 00000000711C: 0B3D3CFA FF015E0F
	v_mul_f32_dpp v159, v15, v159 row_newbcast:15 row_mask:0xf bank_mask:0xf// 000000007124: 0B3F3EFA FF015F0F
	v_mul_f32_e32 v64, v13, v64                                // 00000000712C: 0A80810D
	v_mul_f32_e32 v65, v13, v65                                // 000000007130: 0A82830D
	v_mul_f32_e32 v66, v13, v66                                // 000000007134: 0A84850D
	v_mul_f32_e32 v67, v13, v67                                // 000000007138: 0A86870D
	v_mul_f32_dpp v64, v44, v64 row_newbcast:0 row_mask:0xf bank_mask:0xf// 00000000713C: 0A8080FA FF01502C
	v_mul_f32_dpp v65, v44, v65 row_newbcast:1 row_mask:0xf bank_mask:0xf// 000000007144: 0A8282FA FF01512C
	v_mul_f32_dpp v66, v44, v66 row_newbcast:2 row_mask:0xf bank_mask:0xf// 00000000714C: 0A8484FA FF01522C
	v_mul_f32_dpp v67, v44, v67 row_newbcast:3 row_mask:0xf bank_mask:0xf// 000000007154: 0A8686FA FF01532C
	v_mul_f32_e32 v68, v14, v68                                // 00000000715C: 0A88890E
	v_mul_f32_e32 v69, v14, v69                                // 000000007160: 0A8A8B0E
	v_mul_f32_e32 v70, v14, v70                                // 000000007164: 0A8C8D0E
	v_mul_f32_e32 v71, v14, v71                                // 000000007168: 0A8E8F0E
	v_mul_f32_dpp v68, v44, v68 row_newbcast:0 row_mask:0xf bank_mask:0xf// 00000000716C: 0A8888FA FF01502C
	v_mul_f32_dpp v69, v44, v69 row_newbcast:1 row_mask:0xf bank_mask:0xf// 000000007174: 0A8A8AFA FF01512C
	v_mul_f32_dpp v70, v44, v70 row_newbcast:2 row_mask:0xf bank_mask:0xf// 00000000717C: 0A8C8CFA FF01522C
	v_mul_f32_dpp v71, v44, v71 row_newbcast:3 row_mask:0xf bank_mask:0xf// 000000007184: 0A8E8EFA FF01532C
	v_mul_f32_e32 v72, v13, v72                                // 00000000718C: 0A90910D
	v_mul_f32_e32 v73, v13, v73                                // 000000007190: 0A92930D
	v_mul_f32_e32 v74, v13, v74                                // 000000007194: 0A94950D
	v_mul_f32_e32 v75, v13, v75                                // 000000007198: 0A96970D
	v_mul_f32_dpp v72, v44, v72 row_newbcast:4 row_mask:0xf bank_mask:0xf// 00000000719C: 0A9090FA FF01542C
	v_mul_f32_dpp v73, v44, v73 row_newbcast:5 row_mask:0xf bank_mask:0xf// 0000000071A4: 0A9292FA FF01552C
	v_mul_f32_dpp v74, v44, v74 row_newbcast:6 row_mask:0xf bank_mask:0xf// 0000000071AC: 0A9494FA FF01562C
	v_mul_f32_dpp v75, v44, v75 row_newbcast:7 row_mask:0xf bank_mask:0xf// 0000000071B4: 0A9696FA FF01572C
	v_mul_f32_e32 v76, v14, v76                                // 0000000071BC: 0A98990E
	v_mul_f32_e32 v77, v14, v77                                // 0000000071C0: 0A9A9B0E
	v_mul_f32_e32 v78, v14, v78                                // 0000000071C4: 0A9C9D0E
	v_mul_f32_e32 v79, v14, v79                                // 0000000071C8: 0A9E9F0E
	v_mul_f32_dpp v76, v44, v76 row_newbcast:4 row_mask:0xf bank_mask:0xf// 0000000071CC: 0A9898FA FF01542C
	v_mul_f32_dpp v77, v44, v77 row_newbcast:5 row_mask:0xf bank_mask:0xf// 0000000071D4: 0A9A9AFA FF01552C
	v_mul_f32_dpp v78, v44, v78 row_newbcast:6 row_mask:0xf bank_mask:0xf// 0000000071DC: 0A9C9CFA FF01562C
	v_mul_f32_dpp v79, v44, v79 row_newbcast:7 row_mask:0xf bank_mask:0xf// 0000000071E4: 0A9E9EFA FF01572C
	v_mul_f32_e32 v80, v13, v80                                // 0000000071EC: 0AA0A10D
	v_mul_f32_e32 v81, v13, v81                                // 0000000071F0: 0AA2A30D
	v_mul_f32_e32 v82, v13, v82                                // 0000000071F4: 0AA4A50D
	v_mul_f32_e32 v83, v13, v83                                // 0000000071F8: 0AA6A70D
	v_mul_f32_dpp v80, v44, v80 row_newbcast:8 row_mask:0xf bank_mask:0xf// 0000000071FC: 0AA0A0FA FF01582C
	v_mul_f32_dpp v81, v44, v81 row_newbcast:9 row_mask:0xf bank_mask:0xf// 000000007204: 0AA2A2FA FF01592C
	v_mul_f32_dpp v82, v44, v82 row_newbcast:10 row_mask:0xf bank_mask:0xf// 00000000720C: 0AA4A4FA FF015A2C
	v_mul_f32_dpp v83, v44, v83 row_newbcast:11 row_mask:0xf bank_mask:0xf// 000000007214: 0AA6A6FA FF015B2C
	v_mul_f32_e32 v84, v14, v84                                // 00000000721C: 0AA8A90E
	v_mul_f32_e32 v85, v14, v85                                // 000000007220: 0AAAAB0E
	v_mul_f32_e32 v86, v14, v86                                // 000000007224: 0AACAD0E
	v_mul_f32_e32 v87, v14, v87                                // 000000007228: 0AAEAF0E
	v_mul_f32_dpp v84, v44, v84 row_newbcast:8 row_mask:0xf bank_mask:0xf// 00000000722C: 0AA8A8FA FF01582C
	v_mul_f32_dpp v85, v44, v85 row_newbcast:9 row_mask:0xf bank_mask:0xf// 000000007234: 0AAAAAFA FF01592C
	v_mul_f32_dpp v86, v44, v86 row_newbcast:10 row_mask:0xf bank_mask:0xf// 00000000723C: 0AACACFA FF015A2C
	v_mul_f32_dpp v87, v44, v87 row_newbcast:11 row_mask:0xf bank_mask:0xf// 000000007244: 0AAEAEFA FF015B2C
	v_mul_f32_e32 v88, v13, v88                                // 00000000724C: 0AB0B10D
	v_mul_f32_e32 v89, v13, v89                                // 000000007250: 0AB2B30D
	v_mul_f32_e32 v90, v13, v90                                // 000000007254: 0AB4B50D
	v_mul_f32_e32 v91, v13, v91                                // 000000007258: 0AB6B70D
	v_mul_f32_dpp v88, v44, v88 row_newbcast:12 row_mask:0xf bank_mask:0xf// 00000000725C: 0AB0B0FA FF015C2C
	v_mul_f32_dpp v89, v44, v89 row_newbcast:13 row_mask:0xf bank_mask:0xf// 000000007264: 0AB2B2FA FF015D2C
	v_mul_f32_dpp v90, v44, v90 row_newbcast:14 row_mask:0xf bank_mask:0xf// 00000000726C: 0AB4B4FA FF015E2C
	v_mul_f32_dpp v91, v44, v91 row_newbcast:15 row_mask:0xf bank_mask:0xf// 000000007274: 0AB6B6FA FF015F2C
	v_mul_f32_e32 v92, v14, v92                                // 00000000727C: 0AB8B90E
	v_mul_f32_e32 v93, v14, v93                                // 000000007280: 0ABABB0E
	v_mul_f32_e32 v94, v14, v94                                // 000000007284: 0ABCBD0E
	v_mul_f32_e32 v95, v14, v95                                // 000000007288: 0ABEBF0E
	v_mul_f32_dpp v92, v44, v92 row_newbcast:12 row_mask:0xf bank_mask:0xf// 00000000728C: 0AB8B8FA FF015C2C
	v_mul_f32_dpp v93, v44, v93 row_newbcast:13 row_mask:0xf bank_mask:0xf// 000000007294: 0ABABAFA FF015D2C
	v_mul_f32_dpp v94, v44, v94 row_newbcast:14 row_mask:0xf bank_mask:0xf// 00000000729C: 0ABCBCFA FF015E2C
	v_mul_f32_dpp v95, v44, v95 row_newbcast:15 row_mask:0xf bank_mask:0xf// 0000000072A4: 0ABEBEFA FF015F2C
	s_waitcnt vmcnt(12)                                        // 0000000072AC: BF8C0F7C
	buffer_load_dwordx4 a[0:3], v36, s[12:15], 0 offen         // 0000000072B0: E05C1000 80830024
	v_mul_f32_e64 v46, -v128, s6                               // 0000000072B8: D105002E 20000D80
	v_mul_f32_e64 v47, -v129, s6                               // 0000000072C0: D105002F 20000D81
	v_mul_f32_e64 v48, -v130, s6                               // 0000000072C8: D1050030 20000D82
	v_mul_f32_e64 v49, -v131, s6                               // 0000000072D0: D1050031 20000D83
	v_exp_f32_e32 v46, v46                                     // 0000000072D8: 7E5C412E
	v_exp_f32_e32 v47, v47                                     // 0000000072DC: 7E5E412F
	v_exp_f32_e32 v48, v48                                     // 0000000072E0: 7E604130
	v_exp_f32_e32 v49, v49                                     // 0000000072E4: 7E624131
	buffer_load_dwordx4 a[4:7], v37, s[12:15], 0 offen         // 0000000072E8: E05C1000 80830425
	v_add_f32_e64 v46, v46, 1.0                                // 0000000072F0: D101002E 0001E52E
	v_add_f32_e64 v47, v47, 1.0                                // 0000000072F8: D101002F 0001E52F
	v_add_f32_e64 v48, v48, 1.0                                // 000000007300: D1010030 0001E530
	v_add_f32_e64 v49, v49, 1.0                                // 000000007308: D1010031 0001E531
	v_rcp_f32_e32 v46, v46                                     // 000000007310: 7E5C452E
	v_rcp_f32_e32 v47, v47                                     // 000000007314: 7E5E452F
	v_rcp_f32_e32 v48, v48                                     // 000000007318: 7E604530
	v_rcp_f32_e32 v49, v49                                     // 00000000731C: 7E624531
	v_mul_f32_e32 v128, v128, v46                              // 000000007320: 0B005D80
	v_mul_f32_e32 v129, v129, v47                              // 000000007324: 0B025F81
	v_mul_f32_e32 v130, v130, v48                              // 000000007328: 0B046182
	v_mul_f32_e32 v131, v131, v49                              // 00000000732C: 0B066383
	v_mul_f32_e32 v128, v128, v64                              // 000000007330: 0B008180
	v_mul_f32_e32 v129, v129, v65                              // 000000007334: 0B028381
	v_mul_f32_e32 v130, v130, v66                              // 000000007338: 0B048582
	v_mul_f32_e32 v131, v131, v67                              // 00000000733C: 0B068783
	buffer_load_dwordx4 a[8:11], v38, s[12:15], 0 offen        // 000000007340: E05C1000 80830826
	v_mul_f32_e64 v46, -v132, s6                               // 000000007348: D105002E 20000D84
	v_mul_f32_e64 v47, -v133, s6                               // 000000007350: D105002F 20000D85
	v_mul_f32_e64 v48, -v134, s6                               // 000000007358: D1050030 20000D86
	v_mul_f32_e64 v49, -v135, s6                               // 000000007360: D1050031 20000D87
	v_exp_f32_e32 v46, v46                                     // 000000007368: 7E5C412E
	v_exp_f32_e32 v47, v47                                     // 00000000736C: 7E5E412F
	v_exp_f32_e32 v48, v48                                     // 000000007370: 7E604130
	v_exp_f32_e32 v49, v49                                     // 000000007374: 7E624131
	buffer_load_dwordx4 a[12:15], v39, s[12:15], 0 offen       // 000000007378: E05C1000 80830C27
	s_add_u32 s12, s78, s12                                    // 000000007380: 800C0C4E
	s_addc_u32 s13, 0, s13                                     // 000000007384: 820D0D80
	v_add_f32_e64 v46, v46, 1.0                                // 000000007388: D101002E 0001E52E
	v_add_f32_e64 v47, v47, 1.0                                // 000000007390: D101002F 0001E52F
	v_add_f32_e64 v48, v48, 1.0                                // 000000007398: D1010030 0001E530
	v_add_f32_e64 v49, v49, 1.0                                // 0000000073A0: D1010031 0001E531
	v_rcp_f32_e32 v46, v46                                     // 0000000073A8: 7E5C452E
	v_rcp_f32_e32 v47, v47                                     // 0000000073AC: 7E5E452F
	v_rcp_f32_e32 v48, v48                                     // 0000000073B0: 7E604530
	v_rcp_f32_e32 v49, v49                                     // 0000000073B4: 7E624531
	v_mul_f32_e32 v132, v132, v46                              // 0000000073B8: 0B085D84
	v_mul_f32_e32 v133, v133, v47                              // 0000000073BC: 0B0A5F85
	v_mul_f32_e32 v134, v134, v48                              // 0000000073C0: 0B0C6186
	v_mul_f32_e32 v135, v135, v49                              // 0000000073C4: 0B0E6387
	v_mul_f32_e32 v132, v132, v68                              // 0000000073C8: 0B088984
	v_mul_f32_e32 v133, v133, v69                              // 0000000073CC: 0B0A8B85
	v_mul_f32_e32 v134, v134, v70                              // 0000000073D0: 0B0C8D86
	v_mul_f32_e32 v135, v135, v71                              // 0000000073D4: 0B0E8F87
	s_waitcnt vmcnt(12)                                        // 0000000073D8: BF8C0F7C
	buffer_load_dwordx4 a[16:19], v36, s[12:15], 0 offen       // 0000000073DC: E05C1000 80831024
	v_mul_f32_e64 v46, -v136, s6                               // 0000000073E4: D105002E 20000D88
	v_mul_f32_e64 v47, -v137, s6                               // 0000000073EC: D105002F 20000D89
	v_mul_f32_e64 v48, -v138, s6                               // 0000000073F4: D1050030 20000D8A
	v_mul_f32_e64 v49, -v139, s6                               // 0000000073FC: D1050031 20000D8B
	v_exp_f32_e32 v46, v46                                     // 000000007404: 7E5C412E
	v_exp_f32_e32 v47, v47                                     // 000000007408: 7E5E412F
	v_exp_f32_e32 v48, v48                                     // 00000000740C: 7E604130
	v_exp_f32_e32 v49, v49                                     // 000000007410: 7E624131
	buffer_load_dwordx4 a[20:23], v37, s[12:15], 0 offen       // 000000007414: E05C1000 80831425
	v_add_f32_e64 v46, v46, 1.0                                // 00000000741C: D101002E 0001E52E
	v_add_f32_e64 v47, v47, 1.0                                // 000000007424: D101002F 0001E52F
	v_add_f32_e64 v48, v48, 1.0                                // 00000000742C: D1010030 0001E530
	v_add_f32_e64 v49, v49, 1.0                                // 000000007434: D1010031 0001E531
	v_rcp_f32_e32 v46, v46                                     // 00000000743C: 7E5C452E
	v_rcp_f32_e32 v47, v47                                     // 000000007440: 7E5E452F
	v_rcp_f32_e32 v48, v48                                     // 000000007444: 7E604530
	v_rcp_f32_e32 v49, v49                                     // 000000007448: 7E624531
	v_mul_f32_e32 v136, v136, v46                              // 00000000744C: 0B105D88
	v_mul_f32_e32 v137, v137, v47                              // 000000007450: 0B125F89
	v_mul_f32_e32 v138, v138, v48                              // 000000007454: 0B14618A
	v_mul_f32_e32 v139, v139, v49                              // 000000007458: 0B16638B
	v_mul_f32_e32 v136, v136, v72                              // 00000000745C: 0B109188
	v_mul_f32_e32 v137, v137, v73                              // 000000007460: 0B129389
	v_mul_f32_e32 v138, v138, v74                              // 000000007464: 0B14958A
	v_mul_f32_e32 v139, v139, v75                              // 000000007468: 0B16978B
	buffer_load_dwordx4 a[24:27], v38, s[12:15], 0 offen       // 00000000746C: E05C1000 80831826
	v_mul_f32_e64 v46, -v140, s6                               // 000000007474: D105002E 20000D8C
	v_mul_f32_e64 v47, -v141, s6                               // 00000000747C: D105002F 20000D8D
	v_mul_f32_e64 v48, -v142, s6                               // 000000007484: D1050030 20000D8E
	v_mul_f32_e64 v49, -v143, s6                               // 00000000748C: D1050031 20000D8F
	v_exp_f32_e32 v46, v46                                     // 000000007494: 7E5C412E
	v_exp_f32_e32 v47, v47                                     // 000000007498: 7E5E412F
	v_exp_f32_e32 v48, v48                                     // 00000000749C: 7E604130
	v_exp_f32_e32 v49, v49                                     // 0000000074A0: 7E624131
	buffer_load_dwordx4 a[28:31], v39, s[12:15], 0 offen       // 0000000074A4: E05C1000 80831C27
	s_add_u32 s12, s78, s12                                    // 0000000074AC: 800C0C4E
	s_addc_u32 s13, 0, s13                                     // 0000000074B0: 820D0D80
	v_add_f32_e64 v46, v46, 1.0                                // 0000000074B4: D101002E 0001E52E
	v_add_f32_e64 v47, v47, 1.0                                // 0000000074BC: D101002F 0001E52F
	v_add_f32_e64 v48, v48, 1.0                                // 0000000074C4: D1010030 0001E530
	v_add_f32_e64 v49, v49, 1.0                                // 0000000074CC: D1010031 0001E531
	v_rcp_f32_e32 v46, v46                                     // 0000000074D4: 7E5C452E
	v_rcp_f32_e32 v47, v47                                     // 0000000074D8: 7E5E452F
	v_rcp_f32_e32 v48, v48                                     // 0000000074DC: 7E604530
	v_rcp_f32_e32 v49, v49                                     // 0000000074E0: 7E624531
	v_mul_f32_e32 v140, v140, v46                              // 0000000074E4: 0B185D8C
	v_mul_f32_e32 v141, v141, v47                              // 0000000074E8: 0B1A5F8D
	v_mul_f32_e32 v142, v142, v48                              // 0000000074EC: 0B1C618E
	v_mul_f32_e32 v143, v143, v49                              // 0000000074F0: 0B1E638F
	v_mul_f32_e32 v140, v140, v76                              // 0000000074F4: 0B18998C
	v_mul_f32_e32 v141, v141, v77                              // 0000000074F8: 0B1A9B8D
	v_mul_f32_e32 v142, v142, v78                              // 0000000074FC: 0B1C9D8E
	v_mul_f32_e32 v143, v143, v79                              // 000000007500: 0B1E9F8F
	s_waitcnt vmcnt(12)                                        // 000000007504: BF8C0F7C
	buffer_load_dwordx4 a[32:35], v36, s[12:15], 0 offen       // 000000007508: E05C1000 80832024
	v_mul_f32_e64 v46, -v144, s6                               // 000000007510: D105002E 20000D90
	v_mul_f32_e64 v47, -v145, s6                               // 000000007518: D105002F 20000D91
	v_mul_f32_e64 v48, -v146, s6                               // 000000007520: D1050030 20000D92
	v_mul_f32_e64 v49, -v147, s6                               // 000000007528: D1050031 20000D93
	v_exp_f32_e32 v46, v46                                     // 000000007530: 7E5C412E
	v_exp_f32_e32 v47, v47                                     // 000000007534: 7E5E412F
	v_exp_f32_e32 v48, v48                                     // 000000007538: 7E604130
	v_exp_f32_e32 v49, v49                                     // 00000000753C: 7E624131
	buffer_load_dwordx4 a[36:39], v37, s[12:15], 0 offen       // 000000007540: E05C1000 80832425
	v_add_f32_e64 v46, v46, 1.0                                // 000000007548: D101002E 0001E52E
	v_add_f32_e64 v47, v47, 1.0                                // 000000007550: D101002F 0001E52F
	v_add_f32_e64 v48, v48, 1.0                                // 000000007558: D1010030 0001E530
	v_add_f32_e64 v49, v49, 1.0                                // 000000007560: D1010031 0001E531
	v_rcp_f32_e32 v46, v46                                     // 000000007568: 7E5C452E
	v_rcp_f32_e32 v47, v47                                     // 00000000756C: 7E5E452F
	v_rcp_f32_e32 v48, v48                                     // 000000007570: 7E604530
	v_rcp_f32_e32 v49, v49                                     // 000000007574: 7E624531
	v_mul_f32_e32 v144, v144, v46                              // 000000007578: 0B205D90
	v_mul_f32_e32 v145, v145, v47                              // 00000000757C: 0B225F91
	v_mul_f32_e32 v146, v146, v48                              // 000000007580: 0B246192
	v_mul_f32_e32 v147, v147, v49                              // 000000007584: 0B266393
	v_mul_f32_e32 v144, v144, v80                              // 000000007588: 0B20A190
	v_mul_f32_e32 v145, v145, v81                              // 00000000758C: 0B22A391
	v_mul_f32_e32 v146, v146, v82                              // 000000007590: 0B24A592
	v_mul_f32_e32 v147, v147, v83                              // 000000007594: 0B26A793
	buffer_load_dwordx4 a[40:43], v38, s[12:15], 0 offen       // 000000007598: E05C1000 80832826
	v_mul_f32_e64 v46, -v148, s6                               // 0000000075A0: D105002E 20000D94
	v_mul_f32_e64 v47, -v149, s6                               // 0000000075A8: D105002F 20000D95
	v_mul_f32_e64 v48, -v150, s6                               // 0000000075B0: D1050030 20000D96
	v_mul_f32_e64 v49, -v151, s6                               // 0000000075B8: D1050031 20000D97
	v_exp_f32_e32 v46, v46                                     // 0000000075C0: 7E5C412E
	v_exp_f32_e32 v47, v47                                     // 0000000075C4: 7E5E412F
	v_exp_f32_e32 v48, v48                                     // 0000000075C8: 7E604130
	v_exp_f32_e32 v49, v49                                     // 0000000075CC: 7E624131
	buffer_load_dwordx4 a[44:47], v39, s[12:15], 0 offen       // 0000000075D0: E05C1000 80832C27
	s_add_u32 s12, s78, s12                                    // 0000000075D8: 800C0C4E
	s_addc_u32 s13, 0, s13                                     // 0000000075DC: 820D0D80
	v_add_f32_e64 v46, v46, 1.0                                // 0000000075E0: D101002E 0001E52E
	v_add_f32_e64 v47, v47, 1.0                                // 0000000075E8: D101002F 0001E52F
	v_add_f32_e64 v48, v48, 1.0                                // 0000000075F0: D1010030 0001E530
	v_add_f32_e64 v49, v49, 1.0                                // 0000000075F8: D1010031 0001E531
	v_rcp_f32_e32 v46, v46                                     // 000000007600: 7E5C452E
	v_rcp_f32_e32 v47, v47                                     // 000000007604: 7E5E452F
	v_rcp_f32_e32 v48, v48                                     // 000000007608: 7E604530
	v_rcp_f32_e32 v49, v49                                     // 00000000760C: 7E624531
	v_mul_f32_e32 v148, v148, v46                              // 000000007610: 0B285D94
	v_mul_f32_e32 v149, v149, v47                              // 000000007614: 0B2A5F95
	v_mul_f32_e32 v150, v150, v48                              // 000000007618: 0B2C6196
	v_mul_f32_e32 v151, v151, v49                              // 00000000761C: 0B2E6397
	v_mul_f32_e32 v148, v148, v84                              // 000000007620: 0B28A994
	v_mul_f32_e32 v149, v149, v85                              // 000000007624: 0B2AAB95
	v_mul_f32_e32 v150, v150, v86                              // 000000007628: 0B2CAD96
	v_mul_f32_e32 v151, v151, v87                              // 00000000762C: 0B2EAF97
	s_waitcnt vmcnt(12)                                        // 000000007630: BF8C0F7C
	buffer_load_dwordx4 a[48:51], v36, s[12:15], 0 offen       // 000000007634: E05C1000 80833024
	v_mul_f32_e64 v46, -v152, s6                               // 00000000763C: D105002E 20000D98
	v_mul_f32_e64 v47, -v153, s6                               // 000000007644: D105002F 20000D99
	v_mul_f32_e64 v48, -v154, s6                               // 00000000764C: D1050030 20000D9A
	v_mul_f32_e64 v49, -v155, s6                               // 000000007654: D1050031 20000D9B
	v_exp_f32_e32 v46, v46                                     // 00000000765C: 7E5C412E
	v_exp_f32_e32 v47, v47                                     // 000000007660: 7E5E412F
	v_exp_f32_e32 v48, v48                                     // 000000007664: 7E604130
	v_exp_f32_e32 v49, v49                                     // 000000007668: 7E624131
	buffer_load_dwordx4 a[52:55], v37, s[12:15], 0 offen       // 00000000766C: E05C1000 80833425
	v_add_f32_e64 v46, v46, 1.0                                // 000000007674: D101002E 0001E52E
	v_add_f32_e64 v47, v47, 1.0                                // 00000000767C: D101002F 0001E52F
	v_add_f32_e64 v48, v48, 1.0                                // 000000007684: D1010030 0001E530
	v_add_f32_e64 v49, v49, 1.0                                // 00000000768C: D1010031 0001E531
	v_rcp_f32_e32 v46, v46                                     // 000000007694: 7E5C452E
	v_rcp_f32_e32 v47, v47                                     // 000000007698: 7E5E452F
	v_rcp_f32_e32 v48, v48                                     // 00000000769C: 7E604530
	v_rcp_f32_e32 v49, v49                                     // 0000000076A0: 7E624531
	v_mul_f32_e32 v152, v152, v46                              // 0000000076A4: 0B305D98
	v_mul_f32_e32 v153, v153, v47                              // 0000000076A8: 0B325F99
	v_mul_f32_e32 v154, v154, v48                              // 0000000076AC: 0B34619A
	v_mul_f32_e32 v155, v155, v49                              // 0000000076B0: 0B36639B
	v_mul_f32_e32 v152, v152, v88                              // 0000000076B4: 0B30B198
	v_mul_f32_e32 v153, v153, v89                              // 0000000076B8: 0B32B399
	v_mul_f32_e32 v154, v154, v90                              // 0000000076BC: 0B34B59A
	v_mul_f32_e32 v155, v155, v91                              // 0000000076C0: 0B36B79B
	buffer_load_dwordx4 a[56:59], v38, s[12:15], 0 offen       // 0000000076C4: E05C1000 80833826
	v_mul_f32_e64 v46, -v156, s6                               // 0000000076CC: D105002E 20000D9C
	v_mul_f32_e64 v47, -v157, s6                               // 0000000076D4: D105002F 20000D9D
	v_mul_f32_e64 v48, -v158, s6                               // 0000000076DC: D1050030 20000D9E
	v_mul_f32_e64 v49, -v159, s6                               // 0000000076E4: D1050031 20000D9F
	v_exp_f32_e32 v46, v46                                     // 0000000076EC: 7E5C412E
	v_exp_f32_e32 v47, v47                                     // 0000000076F0: 7E5E412F
	v_exp_f32_e32 v48, v48                                     // 0000000076F4: 7E604130
	v_exp_f32_e32 v49, v49                                     // 0000000076F8: 7E624131
	buffer_load_dwordx4 a[60:63], v39, s[12:15], 0 offen       // 0000000076FC: E05C1000 80833C27
	v_add_f32_e64 v46, v46, 1.0                                // 000000007704: D101002E 0001E52E
	v_add_f32_e64 v47, v47, 1.0                                // 00000000770C: D101002F 0001E52F
	v_add_f32_e64 v48, v48, 1.0                                // 000000007714: D1010030 0001E530
	v_add_f32_e64 v49, v49, 1.0                                // 00000000771C: D1010031 0001E531
	v_rcp_f32_e32 v46, v46                                     // 000000007724: 7E5C452E
	v_rcp_f32_e32 v47, v47                                     // 000000007728: 7E5E452F
	v_rcp_f32_e32 v48, v48                                     // 00000000772C: 7E604530
	v_rcp_f32_e32 v49, v49                                     // 000000007730: 7E624531
	v_mul_f32_e32 v156, v156, v46                              // 000000007734: 0B385D9C
	v_mul_f32_e32 v157, v157, v47                              // 000000007738: 0B3A5F9D
	v_mul_f32_e32 v158, v158, v48                              // 00000000773C: 0B3C619E
	v_mul_f32_e32 v159, v159, v49                              // 000000007740: 0B3E639F
	v_mul_f32_e32 v156, v156, v92                              // 000000007744: 0B38B99C
	v_mul_f32_e32 v157, v157, v93                              // 000000007748: 0B3ABB9D
	v_mul_f32_e32 v158, v158, v94                              // 00000000774C: 0B3CBD9E
	v_mul_f32_e32 v159, v159, v95                              // 000000007750: 0B3EBF9F
	v_mul_f32_dpp v128, v16, v128 row_newbcast:0 row_mask:0xf bank_mask:0xf// 000000007754: 0B0100FA FF015010
	v_mul_f32_dpp v129, v16, v129 row_newbcast:1 row_mask:0xf bank_mask:0xf// 00000000775C: 0B0302FA FF015110
	v_mul_f32_dpp v130, v16, v130 row_newbcast:2 row_mask:0xf bank_mask:0xf// 000000007764: 0B0504FA FF015210
	v_mul_f32_dpp v131, v16, v131 row_newbcast:3 row_mask:0xf bank_mask:0xf// 00000000776C: 0B0706FA FF015310
	v_mul_f32_dpp v132, v16, v132 row_newbcast:0 row_mask:0xf bank_mask:0xf// 000000007774: 0B0908FA FF015010
	v_mul_f32_dpp v133, v16, v133 row_newbcast:1 row_mask:0xf bank_mask:0xf// 00000000777C: 0B0B0AFA FF015110
	v_mul_f32_dpp v134, v16, v134 row_newbcast:2 row_mask:0xf bank_mask:0xf// 000000007784: 0B0D0CFA FF015210
	v_mul_f32_dpp v135, v16, v135 row_newbcast:3 row_mask:0xf bank_mask:0xf// 00000000778C: 0B0F0EFA FF015310
	v_mul_f32_dpp v136, v16, v136 row_newbcast:4 row_mask:0xf bank_mask:0xf// 000000007794: 0B1110FA FF015410
	v_mul_f32_dpp v137, v16, v137 row_newbcast:5 row_mask:0xf bank_mask:0xf// 00000000779C: 0B1312FA FF015510
	v_mul_f32_dpp v138, v16, v138 row_newbcast:6 row_mask:0xf bank_mask:0xf// 0000000077A4: 0B1514FA FF015610
	v_mul_f32_dpp v139, v16, v139 row_newbcast:7 row_mask:0xf bank_mask:0xf// 0000000077AC: 0B1716FA FF015710
	v_mul_f32_dpp v140, v16, v140 row_newbcast:4 row_mask:0xf bank_mask:0xf// 0000000077B4: 0B1918FA FF015410
	v_mul_f32_dpp v141, v16, v141 row_newbcast:5 row_mask:0xf bank_mask:0xf// 0000000077BC: 0B1B1AFA FF015510
	v_mul_f32_dpp v142, v16, v142 row_newbcast:6 row_mask:0xf bank_mask:0xf// 0000000077C4: 0B1D1CFA FF015610
	v_mul_f32_dpp v143, v16, v143 row_newbcast:7 row_mask:0xf bank_mask:0xf// 0000000077CC: 0B1F1EFA FF015710
	v_mul_f32_dpp v144, v16, v144 row_newbcast:8 row_mask:0xf bank_mask:0xf// 0000000077D4: 0B2120FA FF015810
	v_mul_f32_dpp v145, v16, v145 row_newbcast:9 row_mask:0xf bank_mask:0xf// 0000000077DC: 0B2322FA FF015910
	v_mul_f32_dpp v146, v16, v146 row_newbcast:10 row_mask:0xf bank_mask:0xf// 0000000077E4: 0B2524FA FF015A10
	v_mul_f32_dpp v147, v16, v147 row_newbcast:11 row_mask:0xf bank_mask:0xf// 0000000077EC: 0B2726FA FF015B10
	v_mul_f32_dpp v148, v16, v148 row_newbcast:8 row_mask:0xf bank_mask:0xf// 0000000077F4: 0B2928FA FF015810
	v_mul_f32_dpp v149, v16, v149 row_newbcast:9 row_mask:0xf bank_mask:0xf// 0000000077FC: 0B2B2AFA FF015910
	v_mul_f32_dpp v150, v16, v150 row_newbcast:10 row_mask:0xf bank_mask:0xf// 000000007804: 0B2D2CFA FF015A10
	v_mul_f32_dpp v151, v16, v151 row_newbcast:11 row_mask:0xf bank_mask:0xf// 00000000780C: 0B2F2EFA FF015B10
	v_mul_f32_dpp v152, v16, v152 row_newbcast:12 row_mask:0xf bank_mask:0xf// 000000007814: 0B3130FA FF015C10
	v_mul_f32_dpp v153, v16, v153 row_newbcast:13 row_mask:0xf bank_mask:0xf// 00000000781C: 0B3332FA FF015D10
	v_mul_f32_dpp v154, v16, v154 row_newbcast:14 row_mask:0xf bank_mask:0xf// 000000007824: 0B3534FA FF015E10
	v_mul_f32_dpp v155, v16, v155 row_newbcast:15 row_mask:0xf bank_mask:0xf// 00000000782C: 0B3736FA FF015F10
	v_mul_f32_dpp v156, v16, v156 row_newbcast:12 row_mask:0xf bank_mask:0xf// 000000007834: 0B3938FA FF015C10
	v_mul_f32_dpp v157, v16, v157 row_newbcast:13 row_mask:0xf bank_mask:0xf// 00000000783C: 0B3B3AFA FF015D10
	v_mul_f32_dpp v158, v16, v158 row_newbcast:14 row_mask:0xf bank_mask:0xf// 000000007844: 0B3D3CFA FF015E10
	v_mul_f32_dpp v159, v16, v159 row_newbcast:15 row_mask:0xf bank_mask:0xf// 00000000784C: 0B3F3EFA FF015F10
	v_lshlrev_b32_e32 v46, 2, v0                               // 000000007854: 245C0082
	s_mul_i32 s60, s82, s71                                    // 000000007858: 923C4752
	v_add_u32_e64 v80, v46, s60                                // 00000000785C: D1340050 0000792E
	v_mov_b32_e32 v81, 0                                       // 000000007864: 7EA20280
	s_mul_i32 s60, s83, s71                                    // 000000007868: 923C4753
	v_add_u32_e64 v82, v46, s60                                // 00000000786C: D1340052 0000792E
	v_mov_b32_e32 v83, 0                                       // 000000007874: 7EA60280
	s_mul_i32 s60, s84, s71                                    // 000000007878: 923C4754
	v_add_u32_e64 v84, v46, s60                                // 00000000787C: D1340054 0000792E
	v_mov_b32_e32 v85, 0                                       // 000000007884: 7EAA0280
	s_mul_i32 s60, s85, s71                                    // 000000007888: 923C4755
	v_add_u32_e64 v86, v46, s60                                // 00000000788C: D1340056 0000792E
	v_mov_b32_e32 v87, 0                                       // 000000007894: 7EAE0280
	s_mul_i32 s60, s86, s71                                    // 000000007898: 923C4756
	v_add_u32_e64 v88, v46, s60                                // 00000000789C: D1340058 0000792E
	v_mov_b32_e32 v89, 0                                       // 0000000078A4: 7EB20280
	s_mul_i32 s60, s87, s71                                    // 0000000078A8: 923C4757
	v_add_u32_e64 v90, v46, s60                                // 0000000078AC: D134005A 0000792E
	v_mov_b32_e32 v91, 0                                       // 0000000078B4: 7EB60280
	s_mul_i32 s60, s88, s71                                    // 0000000078B8: 923C4758
	v_add_u32_e64 v92, v46, s60                                // 0000000078BC: D134005C 0000792E
	v_mov_b32_e32 v93, 0                                       // 0000000078C4: 7EBA0280
	s_mul_i32 s60, s89, s71                                    // 0000000078C8: 923C4759
	v_add_u32_e64 v94, v46, s60                                // 0000000078CC: D134005E 0000792E
	v_mov_b32_e32 v95, 0                                       // 0000000078D4: 7EBE0280
	buffer_load_dword v11, v5, s[16:19], 0 offen               // 0000000078D8: E0501000 80040B05
	v_mov_b32_e32 v20, 0x358637bd                              // 0000000078E0: 7E2802FF 358637BD
	v_mov_b32_e32 v21, 0x358637bd                              // 0000000078E8: 7E2A02FF 358637BD
	v_max3_f32 v20, |v128|, |v129|, v20                        // 0000000078F0: D1D30314 04530380
	v_max3_f32 v20, |v130|, |v131|, v20                        // 0000000078F8: D1D30314 04530782
	v_max3_f32 v21, |v132|, |v133|, v21                        // 000000007900: D1D30315 04570B84
	v_max3_f32 v21, |v134|, |v135|, v21                        // 000000007908: D1D30315 04570F86
	v_max3_f32 v20, |v136|, |v137|, v20                        // 000000007910: D1D30314 04531388
	v_max3_f32 v20, |v138|, |v139|, v20                        // 000000007918: D1D30314 0453178A
	v_max3_f32 v21, |v140|, |v141|, v21                        // 000000007920: D1D30315 04571B8C
	v_max3_f32 v21, |v142|, |v143|, v21                        // 000000007928: D1D30315 04571F8E
	v_max3_f32 v20, |v144|, |v145|, v20                        // 000000007930: D1D30314 04532390
	v_max3_f32 v20, |v146|, |v147|, v20                        // 000000007938: D1D30314 04532792
	v_max3_f32 v21, |v148|, |v149|, v21                        // 000000007940: D1D30315 04572B94
	v_max3_f32 v21, |v150|, |v151|, v21                        // 000000007948: D1D30315 04572F96
	v_max3_f32 v20, |v152|, |v153|, v20                        // 000000007950: D1D30314 04533398
	v_max3_f32 v20, |v154|, |v155|, v20                        // 000000007958: D1D30314 0453379A
	v_max3_f32 v21, |v156|, |v157|, v21                        // 000000007960: D1D30315 04573B9C
	v_max3_f32 v21, |v158|, |v159|, v21                        // 000000007968: D1D30315 04573F9E
	v_lshlrev_b32_e32 v46, 3, v0                               // 000000007970: 245C0083
	s_mul_i32 s60, 0x200, s7                                   // 000000007974: 923C07FF 00000200
	v_add_u32_e32 v46, s60, v46                                // 00000000797C: 685C5C3C
	ds_write_b64 v46, v[20:21] offset:16640                    // 000000007980: D89A4100 0000142E
	s_waitcnt lgkmcnt(0)                                       // 000000007988: BF8CC07F
	s_barrier                                                  // 00000000798C: BF8A0000
	v_and_b32_e32 v46, 15, v0                                  // 000000007990: 265C008F
	v_lshlrev_b32_e32 v46, 3, v46                              // 000000007994: 245C5C83
	ds_read_b64 v[96:97], v46 offset:16640                     // 000000007998: D8EC4100 6000002E
	ds_read_b64 v[98:99], v46 offset:16768                     // 0000000079A0: D8EC4180 6200002E
	ds_read_b64 v[100:101], v46 offset:16896                   // 0000000079A8: D8EC4200 6400002E
	ds_read_b64 v[102:103], v46 offset:17024                   // 0000000079B0: D8EC4280 6600002E
	ds_read_b64 v[104:105], v46 offset:17152                   // 0000000079B8: D8EC4300 6800002E
	ds_read_b64 v[106:107], v46 offset:17280                   // 0000000079C0: D8EC4380 6A00002E
	ds_read_b64 v[108:109], v46 offset:17408                   // 0000000079C8: D8EC4400 6C00002E
	ds_read_b64 v[110:111], v46 offset:17536                   // 0000000079D0: D8EC4480 6E00002E
	ds_read_b64 v[112:113], v46 offset:17664                   // 0000000079D8: D8EC4500 7000002E
	ds_read_b64 v[114:115], v46 offset:17792                   // 0000000079E0: D8EC4580 7200002E
	ds_read_b64 v[116:117], v46 offset:17920                   // 0000000079E8: D8EC4600 7400002E
	ds_read_b64 v[118:119], v46 offset:18048                   // 0000000079F0: D8EC4680 7600002E
	ds_read_b64 v[120:121], v46 offset:18176                   // 0000000079F8: D8EC4700 7800002E
	ds_read_b64 v[122:123], v46 offset:18304                   // 000000007A00: D8EC4780 7A00002E
	ds_read_b64 v[124:125], v46 offset:18432                   // 000000007A08: D8EC4800 7C00002E
	ds_read_b64 v[126:127], v46 offset:18560                   // 000000007A10: D8EC4880 7E00002E
	s_waitcnt lgkmcnt(0)                                       // 000000007A18: BF8CC07F
	v_max3_f32 v20, |v96|, |v98|, v20                          // 000000007A1C: D1D30314 0452C560
	v_max3_f32 v21, |v97|, |v99|, v21                          // 000000007A24: D1D30315 0456C761
	v_max3_f32 v20, |v100|, |v102|, v20                        // 000000007A2C: D1D30314 0452CD64
	v_max3_f32 v21, |v101|, |v103|, v21                        // 000000007A34: D1D30315 0456CF65
	v_max3_f32 v20, |v104|, |v106|, v20                        // 000000007A3C: D1D30314 0452D568
	v_max3_f32 v21, |v105|, |v107|, v21                        // 000000007A44: D1D30315 0456D769
	v_max3_f32 v20, |v108|, |v110|, v20                        // 000000007A4C: D1D30314 0452DD6C
	v_max3_f32 v21, |v109|, |v111|, v21                        // 000000007A54: D1D30315 0456DF6D
	v_max3_f32 v20, |v112|, |v114|, v20                        // 000000007A5C: D1D30314 0452E570
	v_max3_f32 v21, |v113|, |v115|, v21                        // 000000007A64: D1D30315 0456E771
	v_max3_f32 v20, |v116|, |v118|, v20                        // 000000007A6C: D1D30314 0452ED74
	v_max3_f32 v21, |v117|, |v119|, v21                        // 000000007A74: D1D30315 0456EF75
	v_max3_f32 v20, |v120|, |v122|, v20                        // 000000007A7C: D1D30314 0452F578
	v_max3_f32 v21, |v121|, |v123|, v21                        // 000000007A84: D1D30315 0456F779
	v_max3_f32 v20, |v124|, |v126|, v20                        // 000000007A8C: D1D30314 0452FD7C
	v_max3_f32 v21, |v125|, |v127|, v21                        // 000000007A94: D1D30315 0456FF7D
	v_rcp_f32_e32 v20, v20                                     // 000000007A9C: 7E284514
	v_rcp_f32_e32 v21, v21                                     // 000000007AA0: 7E2A4515
	v_mov_b32_e32 v46, 0x43700000                              // 000000007AA4: 7E5C02FF 43700000
	v_mul_f32_e32 v20, v46, v20                                // 000000007AAC: 0A28292E
	v_mul_f32_e32 v21, v46, v21                                // 000000007AB0: 0A2A2B2E
	v_mul_f32_e32 v128, v20, v128                              // 000000007AB4: 0B010114
	v_mul_f32_e32 v129, v20, v129                              // 000000007AB8: 0B030314
	v_mul_f32_e32 v130, v20, v130                              // 000000007ABC: 0B050514
	v_mul_f32_e32 v131, v20, v131                              // 000000007AC0: 0B070714
	v_cvt_pk_fp8_f32 v128, v128, v129                          // 000000007AC4: D2A20080 00030380
	v_cvt_pk_fp8_f32 v128, v130, v131 op_sel:[0,0,1]           // 000000007ACC: D2A24080 00030782
	v_mul_f32_e32 v132, v21, v132                              // 000000007AD4: 0B090915
	v_mul_f32_e32 v133, v21, v133                              // 000000007AD8: 0B0B0B15
	v_mul_f32_e32 v134, v21, v134                              // 000000007ADC: 0B0D0D15
	v_mul_f32_e32 v135, v21, v135                              // 000000007AE0: 0B0F0F15
	v_cvt_pk_fp8_f32 v129, v132, v133                          // 000000007AE4: D2A20081 00030B84
	v_cvt_pk_fp8_f32 v129, v134, v135 op_sel:[0,0,1]           // 000000007AEC: D2A24081 00030F86
	v_mul_f32_e32 v136, v20, v136                              // 000000007AF4: 0B111114
	v_mul_f32_e32 v137, v20, v137                              // 000000007AF8: 0B131314
	v_mul_f32_e32 v138, v20, v138                              // 000000007AFC: 0B151514
	v_mul_f32_e32 v139, v20, v139                              // 000000007B00: 0B171714
	v_cvt_pk_fp8_f32 v130, v136, v137                          // 000000007B04: D2A20082 00031388
	v_cvt_pk_fp8_f32 v130, v138, v139 op_sel:[0,0,1]           // 000000007B0C: D2A24082 0003178A
	v_mul_f32_e32 v140, v21, v140                              // 000000007B14: 0B191915
	v_mul_f32_e32 v141, v21, v141                              // 000000007B18: 0B1B1B15
	v_mul_f32_e32 v142, v21, v142                              // 000000007B1C: 0B1D1D15
	v_mul_f32_e32 v143, v21, v143                              // 000000007B20: 0B1F1F15
	v_cvt_pk_fp8_f32 v131, v140, v141                          // 000000007B24: D2A20083 00031B8C
	v_cvt_pk_fp8_f32 v131, v142, v143 op_sel:[0,0,1]           // 000000007B2C: D2A24083 00031F8E
	v_mul_f32_e32 v144, v20, v144                              // 000000007B34: 0B212114
	v_mul_f32_e32 v145, v20, v145                              // 000000007B38: 0B232314
	v_mul_f32_e32 v146, v20, v146                              // 000000007B3C: 0B252514
	v_mul_f32_e32 v147, v20, v147                              // 000000007B40: 0B272714
	v_cvt_pk_fp8_f32 v132, v144, v145                          // 000000007B44: D2A20084 00032390
	v_cvt_pk_fp8_f32 v132, v146, v147 op_sel:[0,0,1]           // 000000007B4C: D2A24084 00032792
	v_mul_f32_e32 v148, v21, v148                              // 000000007B54: 0B292915
	v_mul_f32_e32 v149, v21, v149                              // 000000007B58: 0B2B2B15
	v_mul_f32_e32 v150, v21, v150                              // 000000007B5C: 0B2D2D15
	v_mul_f32_e32 v151, v21, v151                              // 000000007B60: 0B2F2F15
	v_cvt_pk_fp8_f32 v133, v148, v149                          // 000000007B64: D2A20085 00032B94
	v_cvt_pk_fp8_f32 v133, v150, v151 op_sel:[0,0,1]           // 000000007B6C: D2A24085 00032F96
	v_mul_f32_e32 v152, v20, v152                              // 000000007B74: 0B313114
	v_mul_f32_e32 v153, v20, v153                              // 000000007B78: 0B333314
	v_mul_f32_e32 v154, v20, v154                              // 000000007B7C: 0B353514
	v_mul_f32_e32 v155, v20, v155                              // 000000007B80: 0B373714
	v_cvt_pk_fp8_f32 v134, v152, v153                          // 000000007B84: D2A20086 00033398
	v_cvt_pk_fp8_f32 v134, v154, v155 op_sel:[0,0,1]           // 000000007B8C: D2A24086 0003379A
	v_mul_f32_e32 v156, v21, v156                              // 000000007B94: 0B393915
	v_mul_f32_e32 v157, v21, v157                              // 000000007B98: 0B3B3B15
	v_mul_f32_e32 v158, v21, v158                              // 000000007B9C: 0B3D3D15
	v_mul_f32_e32 v159, v21, v159                              // 000000007BA0: 0B3F3F15
	v_cvt_pk_fp8_f32 v135, v156, v157                          // 000000007BA4: D2A20087 00033B9C
	v_cvt_pk_fp8_f32 v135, v158, v159 op_sel:[0,0,1]           // 000000007BAC: D2A24087 00033F9E
	v_rcp_f32_e32 v22, v20                                     // 000000007BB4: 7E2C4514
	v_rcp_f32_e32 v23, v21                                     // 000000007BB8: 7E2E4515
	v_lshrrev_b32_e32 v46, 5, v0                               // 000000007BBC: 205C0085
	v_lshlrev_b32_e32 v47, 5, v46                              // 000000007BC0: 245E5C85
	v_and_b32_e32 v46, 31, v0                                  // 000000007BC4: 265C009F
	v_lshrrev_b32_e32 v48, 4, v46                              // 000000007BC8: 20605C84
	v_add_u32_e32 v47, v48, v47                                // 000000007BCC: 685E5F30
	v_and_b32_e32 v46, 15, v0                                  // 000000007BD0: 265C008F
	v_lshlrev_b32_e32 v46, 1, v46                              // 000000007BD4: 245C5C81
	v_add_u32_e32 v47, v46, v47                                // 000000007BD8: 685E5F2E
	v_lshlrev_b32_e32 v46, 2, v47                              // 000000007BDC: 245C5E82
	s_mul_i32 s60, 0x100, s7                                   // 000000007BE0: 923C07FF 00000100
	v_add_u32_e64 v46, v46, s60                                // 000000007BE8: D134002E 0000792E
	ds_write_b32 v46, v128 offset:18688                        // 000000007BF0: D81A4900 0000802E
	ds_write_b32 v46, v129 offset:22784                        // 000000007BF8: D81A5900 0000812E
	ds_write_b32 v46, v130 offset:19712                        // 000000007C00: D81A4D00 0000822E
	ds_write_b32 v46, v131 offset:23808                        // 000000007C08: D81A5D00 0000832E
	ds_write_b32 v46, v132 offset:20736                        // 000000007C10: D81A5100 0000842E
	ds_write_b32 v46, v133 offset:24832                        // 000000007C18: D81A6100 0000852E
	ds_write_b32 v46, v134 offset:21760                        // 000000007C20: D81A5500 0000862E
	ds_write_b32 v46, v135 offset:25856                        // 000000007C28: D81A6500 0000872E
	s_waitcnt lgkmcnt(0)                                       // 000000007C30: BF8CC07F
	s_barrier                                                  // 000000007C34: BF8A0000
	v_lshrrev_b32_e32 v46, 4, v0                               // 000000007C38: 205C0084
	v_lshlrev_b32_e32 v47, 6, v46                              // 000000007C3C: 245E5C86
	v_and_b32_e32 v46, 15, v0                                  // 000000007C40: 265C008F
	v_lshlrev_b32_e32 v46, 1, v46                              // 000000007C44: 245C5C81
	v_add_u32_e32 v47, v46, v47                                // 000000007C48: 685E5F2E
	v_lshlrev_b32_e32 v46, 2, v47                              // 000000007C4C: 245C5E82
	ds_read_b64 v[128:129], v46 offset:18688                   // 000000007C50: D8EC4900 8000002E
	ds_read_b64 v[130:131], v46 offset:18816                   // 000000007C58: D8EC4980 8200002E
	ds_read_b64 v[132:133], v46 offset:19712                   // 000000007C60: D8EC4D00 8400002E
	ds_read_b64 v[134:135], v46 offset:19840                   // 000000007C68: D8EC4D80 8600002E
	ds_read_b64 v[136:137], v46 offset:20736                   // 000000007C70: D8EC5100 8800002E
	ds_read_b64 v[138:139], v46 offset:20864                   // 000000007C78: D8EC5180 8A00002E
	ds_read_b64 v[140:141], v46 offset:21760                   // 000000007C80: D8EC5500 8C00002E
	ds_read_b64 v[142:143], v46 offset:21888                   // 000000007C88: D8EC5580 8E00002E
	ds_read_b64 v[144:145], v46 offset:22784                   // 000000007C90: D8EC5900 9000002E
	ds_read_b64 v[146:147], v46 offset:22912                   // 000000007C98: D8EC5980 9200002E
	ds_read_b64 v[148:149], v46 offset:23808                   // 000000007CA0: D8EC5D00 9400002E
	ds_read_b64 v[150:151], v46 offset:23936                   // 000000007CA8: D8EC5D80 9600002E
	ds_read_b64 v[152:153], v46 offset:24832                   // 000000007CB0: D8EC6100 9800002E
	ds_read_b64 v[154:155], v46 offset:24960                   // 000000007CB8: D8EC6180 9A00002E
	ds_read_b64 v[156:157], v46 offset:25856                   // 000000007CC0: D8EC6500 9C00002E
	ds_read_b64 v[158:159], v46 offset:25984                   // 000000007CC8: D8EC6580 9E00002E
	s_add_u32 s12, s56, s12                                    // 000000007CD0: 800C0C38
	s_addc_u32 s13, 0, s13                                     // 000000007CD4: 820D0D80
	s_add_u32 s16, s79, s16                                    // 000000007CD8: 8010104F
	s_addc_u32 s17, 0, s17                                     // 000000007CDC: 82111180
	s_mov_b32 s80, 0                                           // 000000007CE0: BED00080
	s_waitcnt vmcnt(0) expcnt(0) lgkmcnt(0)                    // 000000007CE4: BF8C0000

0000000000007ce8 <label_147A>:
	s_waitcnt vmcnt(29)                                        // 000000007CE8: BF8C4F7D
	s_barrier                                                  // 000000007CEC: BF8A0000
	v_mfma_f32_16x16x32_fp8_fp8 v[160:163], a[0:1], v[128:129], 0// 000000007CF0: D3F300A0 0A030100
	buffer_load_dwordx4 a[64:67], v36, s[12:15], 0 offen       // 000000007CF8: E05C1000 80834024
	v_mfma_f32_16x16x32_fp8_fp8 v[160:163], a[2:3], v[130:131], v[160:163]// 000000007D00: D3F300A0 0E830502
	v_mfma_f32_16x16x32_fp8_fp8 v[164:167], a[0:1], v[144:145], 0// 000000007D08: D3F300A4 0A032100
	v_mfma_f32_16x16x32_fp8_fp8 v[164:167], a[2:3], v[146:147], v[164:167]// 000000007D10: D3F300A4 0E932502
	v_mfma_f32_16x16x32_fp8_fp8 v[168:171], a[4:5], v[128:129], 0// 000000007D18: D3F300A8 0A030104
	buffer_load_dwordx4 a[68:71], v37, s[12:15], 0 offen       // 000000007D20: E05C1000 80834425
	v_mfma_f32_16x16x32_fp8_fp8 v[168:171], a[6:7], v[130:131], v[168:171]// 000000007D28: D3F300A8 0EA30506
	v_mfma_f32_16x16x32_fp8_fp8 v[172:175], a[4:5], v[144:145], 0// 000000007D30: D3F300AC 0A032104
	v_mfma_f32_16x16x32_fp8_fp8 v[172:175], a[6:7], v[146:147], v[172:175]// 000000007D38: D3F300AC 0EB32506
	v_mfma_f32_16x16x32_fp8_fp8 v[176:179], a[8:9], v[128:129], 0// 000000007D40: D3F300B0 0A030108
	buffer_load_dwordx4 a[72:75], v38, s[12:15], 0 offen       // 000000007D48: E05C1000 80834826
	v_mfma_f32_16x16x32_fp8_fp8 v[176:179], a[10:11], v[130:131], v[176:179]// 000000007D50: D3F300B0 0EC3050A
	v_mfma_f32_16x16x32_fp8_fp8 v[180:183], a[8:9], v[144:145], 0// 000000007D58: D3F300B4 0A032108
	v_mfma_f32_16x16x32_fp8_fp8 v[180:183], a[10:11], v[146:147], v[180:183]// 000000007D60: D3F300B4 0ED3250A
	v_mfma_f32_16x16x32_fp8_fp8 v[184:187], a[12:13], v[128:129], 0// 000000007D68: D3F300B8 0A03010C
	buffer_load_dwordx4 a[76:79], v39, s[12:15], 0 offen       // 000000007D70: E05C1000 80834C27
	s_add_u32 s12, s78, s12                                    // 000000007D78: 800C0C4E
	s_addc_u32 s13, 0, s13                                     // 000000007D7C: 820D0D80
	v_mfma_f32_16x16x32_fp8_fp8 v[184:187], a[14:15], v[130:131], v[184:187]// 000000007D80: D3F300B8 0EE3050E
	v_mfma_f32_16x16x32_fp8_fp8 v[188:191], a[12:13], v[144:145], 0// 000000007D88: D3F300BC 0A03210C
	v_mfma_f32_16x16x32_fp8_fp8 v[188:191], a[14:15], v[146:147], v[188:191]// 000000007D90: D3F300BC 0EF3250E
	s_waitcnt vmcnt(29)                                        // 000000007D98: BF8C4F7D
	v_mfma_f32_16x16x32_fp8_fp8 v[160:163], a[16:17], v[132:133], v[160:163]// 000000007D9C: D3F300A0 0E830910
	buffer_load_dwordx4 a[80:83], v36, s[12:15], 0 offen       // 000000007DA4: E05C1000 80835024
	v_mfma_f32_16x16x32_fp8_fp8 v[160:163], a[18:19], v[134:135], v[160:163]// 000000007DAC: D3F300A0 0E830D12
	v_mfma_f32_16x16x32_fp8_fp8 v[164:167], a[16:17], v[148:149], v[164:167]// 000000007DB4: D3F300A4 0E932910
	v_mfma_f32_16x16x32_fp8_fp8 v[164:167], a[18:19], v[150:151], v[164:167]// 000000007DBC: D3F300A4 0E932D12
	v_mfma_f32_16x16x32_fp8_fp8 v[168:171], a[20:21], v[132:133], v[168:171]// 000000007DC4: D3F300A8 0EA30914
	buffer_load_dwordx4 a[84:87], v37, s[12:15], 0 offen       // 000000007DCC: E05C1000 80835425
	v_mfma_f32_16x16x32_fp8_fp8 v[168:171], a[22:23], v[134:135], v[168:171]// 000000007DD4: D3F300A8 0EA30D16
	v_mfma_f32_16x16x32_fp8_fp8 v[172:175], a[20:21], v[148:149], v[172:175]// 000000007DDC: D3F300AC 0EB32914
	v_mfma_f32_16x16x32_fp8_fp8 v[172:175], a[22:23], v[150:151], v[172:175]// 000000007DE4: D3F300AC 0EB32D16
	v_mfma_f32_16x16x32_fp8_fp8 v[176:179], a[24:25], v[132:133], v[176:179]// 000000007DEC: D3F300B0 0EC30918
	buffer_load_dwordx4 a[88:91], v38, s[12:15], 0 offen       // 000000007DF4: E05C1000 80835826
	v_mfma_f32_16x16x32_fp8_fp8 v[176:179], a[26:27], v[134:135], v[176:179]// 000000007DFC: D3F300B0 0EC30D1A
	v_mfma_f32_16x16x32_fp8_fp8 v[180:183], a[24:25], v[148:149], v[180:183]// 000000007E04: D3F300B4 0ED32918
	v_mfma_f32_16x16x32_fp8_fp8 v[180:183], a[26:27], v[150:151], v[180:183]// 000000007E0C: D3F300B4 0ED32D1A
	v_mfma_f32_16x16x32_fp8_fp8 v[184:187], a[28:29], v[132:133], v[184:187]// 000000007E14: D3F300B8 0EE3091C
	buffer_load_dwordx4 a[92:95], v39, s[12:15], 0 offen       // 000000007E1C: E05C1000 80835C27
	s_add_u32 s12, s78, s12                                    // 000000007E24: 800C0C4E
	s_addc_u32 s13, 0, s13                                     // 000000007E28: 820D0D80
	v_mfma_f32_16x16x32_fp8_fp8 v[184:187], a[30:31], v[134:135], v[184:187]// 000000007E2C: D3F300B8 0EE30D1E
	v_mfma_f32_16x16x32_fp8_fp8 v[188:191], a[28:29], v[148:149], v[188:191]// 000000007E34: D3F300BC 0EF3291C
	v_mfma_f32_16x16x32_fp8_fp8 v[188:191], a[30:31], v[150:151], v[188:191]// 000000007E3C: D3F300BC 0EF32D1E
	s_waitcnt vmcnt(29)                                        // 000000007E44: BF8C4F7D
	v_mfma_f32_16x16x32_fp8_fp8 v[160:163], a[32:33], v[136:137], v[160:163]// 000000007E48: D3F300A0 0E831120
	buffer_load_dwordx4 a[96:99], v36, s[12:15], 0 offen       // 000000007E50: E05C1000 80836024
	v_mfma_f32_16x16x32_fp8_fp8 v[160:163], a[34:35], v[138:139], v[160:163]// 000000007E58: D3F300A0 0E831522
	v_mfma_f32_16x16x32_fp8_fp8 v[164:167], a[32:33], v[152:153], v[164:167]// 000000007E60: D3F300A4 0E933120
	v_mfma_f32_16x16x32_fp8_fp8 v[164:167], a[34:35], v[154:155], v[164:167]// 000000007E68: D3F300A4 0E933522
	v_mfma_f32_16x16x32_fp8_fp8 v[168:171], a[36:37], v[136:137], v[168:171]// 000000007E70: D3F300A8 0EA31124
	buffer_load_dwordx4 a[100:103], v37, s[12:15], 0 offen     // 000000007E78: E05C1000 80836425
	v_mfma_f32_16x16x32_fp8_fp8 v[168:171], a[38:39], v[138:139], v[168:171]// 000000007E80: D3F300A8 0EA31526
	v_mfma_f32_16x16x32_fp8_fp8 v[172:175], a[36:37], v[152:153], v[172:175]// 000000007E88: D3F300AC 0EB33124
	v_mfma_f32_16x16x32_fp8_fp8 v[172:175], a[38:39], v[154:155], v[172:175]// 000000007E90: D3F300AC 0EB33526
	v_mfma_f32_16x16x32_fp8_fp8 v[176:179], a[40:41], v[136:137], v[176:179]// 000000007E98: D3F300B0 0EC31128
	buffer_load_dwordx4 a[104:107], v38, s[12:15], 0 offen     // 000000007EA0: E05C1000 80836826
	v_mfma_f32_16x16x32_fp8_fp8 v[176:179], a[42:43], v[138:139], v[176:179]// 000000007EA8: D3F300B0 0EC3152A
	v_mfma_f32_16x16x32_fp8_fp8 v[180:183], a[40:41], v[152:153], v[180:183]// 000000007EB0: D3F300B4 0ED33128
	v_mfma_f32_16x16x32_fp8_fp8 v[180:183], a[42:43], v[154:155], v[180:183]// 000000007EB8: D3F300B4 0ED3352A
	v_mfma_f32_16x16x32_fp8_fp8 v[184:187], a[44:45], v[136:137], v[184:187]// 000000007EC0: D3F300B8 0EE3112C
	buffer_load_dwordx4 a[108:111], v39, s[12:15], 0 offen     // 000000007EC8: E05C1000 80836C27
	s_add_u32 s12, s78, s12                                    // 000000007ED0: 800C0C4E
	s_addc_u32 s13, 0, s13                                     // 000000007ED4: 820D0D80
	v_mfma_f32_16x16x32_fp8_fp8 v[184:187], a[46:47], v[138:139], v[184:187]// 000000007ED8: D3F300B8 0EE3152E
	v_mfma_f32_16x16x32_fp8_fp8 v[188:191], a[44:45], v[152:153], v[188:191]// 000000007EE0: D3F300BC 0EF3312C
	v_mfma_f32_16x16x32_fp8_fp8 v[188:191], a[46:47], v[154:155], v[188:191]// 000000007EE8: D3F300BC 0EF3352E
	s_waitcnt vmcnt(28)                                        // 000000007EF0: BF8C4F7C
	v_mfma_f32_16x16x32_fp8_fp8 v[160:163], a[48:49], v[140:141], v[160:163]// 000000007EF4: D3F300A0 0E831930
	buffer_load_dwordx4 a[112:115], v36, s[12:15], 0 offen     // 000000007EFC: E05C1000 80837024
	v_mfma_f32_16x16x32_fp8_fp8 v[160:163], a[50:51], v[142:143], v[160:163]// 000000007F04: D3F300A0 0E831D32
	v_mfma_f32_16x16x32_fp8_fp8 v[164:167], a[48:49], v[156:157], v[164:167]// 000000007F0C: D3F300A4 0E933930
	buffer_load_dword v12, v5, s[16:19], 0 offen               // 000000007F14: E0501000 80040C05
	v_mfma_f32_16x16x32_fp8_fp8 v[164:167], a[50:51], v[158:159], v[164:167]// 000000007F1C: D3F300A4 0E933D32
	v_mfma_f32_16x16x32_fp8_fp8 v[168:171], a[52:53], v[140:141], v[168:171]// 000000007F24: D3F300A8 0EA31934
	buffer_load_dwordx4 a[116:119], v37, s[12:15], 0 offen     // 000000007F2C: E05C1000 80837425
	v_mfma_f32_16x16x32_fp8_fp8 v[168:171], a[54:55], v[142:143], v[168:171]// 000000007F34: D3F300A8 0EA31D36
	v_mfma_f32_16x16x32_fp8_fp8 v[172:175], a[52:53], v[156:157], v[172:175]// 000000007F3C: D3F300AC 0EB33934
	v_mfma_f32_16x16x32_fp8_fp8 v[172:175], a[54:55], v[158:159], v[172:175]// 000000007F44: D3F300AC 0EB33D36
	v_mfma_f32_16x16x32_fp8_fp8 v[176:179], a[56:57], v[140:141], v[176:179]// 000000007F4C: D3F300B0 0EC31938
	buffer_load_dwordx4 a[120:123], v38, s[12:15], 0 offen     // 000000007F54: E05C1000 80837826
	v_mfma_f32_16x16x32_fp8_fp8 v[176:179], a[58:59], v[142:143], v[176:179]// 000000007F5C: D3F300B0 0EC31D3A
	v_mfma_f32_16x16x32_fp8_fp8 v[180:183], a[56:57], v[156:157], v[180:183]// 000000007F64: D3F300B4 0ED33938
	v_mfma_f32_16x16x32_fp8_fp8 v[180:183], a[58:59], v[158:159], v[180:183]// 000000007F6C: D3F300B4 0ED33D3A
	v_mfma_f32_16x16x32_fp8_fp8 v[184:187], a[60:61], v[140:141], v[184:187]// 000000007F74: D3F300B8 0EE3193C
	buffer_load_dwordx4 a[124:127], v39, s[12:15], 0 offen     // 000000007F7C: E05C1000 80837C27
	v_mfma_f32_16x16x32_fp8_fp8 v[184:187], a[62:63], v[142:143], v[184:187]// 000000007F84: D3F300B8 0EE31D3E
	v_mfma_f32_16x16x32_fp8_fp8 v[188:191], a[60:61], v[156:157], v[188:191]// 000000007F8C: D3F300BC 0EF3393C
	v_mfma_f32_16x16x32_fp8_fp8 v[188:191], a[62:63], v[158:159], v[188:191]// 000000007F94: D3F300BC 0EF33D3E
	s_add_u32 s60, 0x200, s80                                  // 000000007F9C: 803C50FF 00000200
	s_cmp_lt_u32 s60, s81                                      // 000000007FA4: BF0A513C
	s_cselect_b32 s56, s56, 0                                  // 000000007FA8: 85388038
	s_cselect_b32 s78, s78, 0                                  // 000000007FAC: 854E804E
	s_cselect_b32 s79, s79, 0                                  // 000000007FB0: 854F804F
	s_add_u32 s12, s56, s12                                    // 000000007FB4: 800C0C38
	s_addc_u32 s13, 0, s13                                     // 000000007FB8: 820D0D80
	s_add_u32 s16, s79, s16                                    // 000000007FBC: 8010104F
	s_addc_u32 s17, 0, s17                                     // 000000007FC0: 82111180
	v_mul_f32_e32 v160, v22, v160                              // 000000007FC4: 0B414116
	v_mul_f32_e32 v161, v22, v161                              // 000000007FC8: 0B434316
	v_mul_f32_e32 v162, v22, v162                              // 000000007FCC: 0B454516
	v_mul_f32_e32 v163, v22, v163                              // 000000007FD0: 0B474716
	v_mul_f32_dpp v160, v11, v160 row_newbcast:0 row_mask:0xf bank_mask:0xf// 000000007FD4: 0B4140FA FF01500B
	v_mul_f32_dpp v161, v11, v161 row_newbcast:1 row_mask:0xf bank_mask:0xf// 000000007FDC: 0B4342FA FF01510B
	v_mul_f32_dpp v162, v11, v162 row_newbcast:2 row_mask:0xf bank_mask:0xf// 000000007FE4: 0B4544FA FF01520B
	v_mul_f32_dpp v163, v11, v163 row_newbcast:3 row_mask:0xf bank_mask:0xf// 000000007FEC: 0B4746FA FF01530B
	v_mul_f32_e32 v160, v17, v160                              // 000000007FF4: 0B414111
	v_mul_f32_e32 v161, v17, v161                              // 000000007FF8: 0B434311
	v_mul_f32_e32 v162, v17, v162                              // 000000007FFC: 0B454511
	v_mul_f32_e32 v163, v17, v163                              // 000000008000: 0B474711
	v_mul_f32_e32 v164, v23, v164                              // 000000008004: 0B494917
	v_mul_f32_e32 v165, v23, v165                              // 000000008008: 0B4B4B17
	v_mul_f32_e32 v166, v23, v166                              // 00000000800C: 0B4D4D17
	v_mul_f32_e32 v167, v23, v167                              // 000000008010: 0B4F4F17
	v_mul_f32_dpp v164, v11, v164 row_newbcast:0 row_mask:0xf bank_mask:0xf// 000000008014: 0B4948FA FF01500B
	v_mul_f32_dpp v165, v11, v165 row_newbcast:1 row_mask:0xf bank_mask:0xf// 00000000801C: 0B4B4AFA FF01510B
	v_mul_f32_dpp v166, v11, v166 row_newbcast:2 row_mask:0xf bank_mask:0xf// 000000008024: 0B4D4CFA FF01520B
	v_mul_f32_dpp v167, v11, v167 row_newbcast:3 row_mask:0xf bank_mask:0xf// 00000000802C: 0B4F4EFA FF01530B
	v_mul_f32_e32 v164, v18, v164                              // 000000008034: 0B494912
	v_mul_f32_e32 v165, v18, v165                              // 000000008038: 0B4B4B12
	v_mul_f32_e32 v166, v18, v166                              // 00000000803C: 0B4D4D12
	v_mul_f32_e32 v167, v18, v167                              // 000000008040: 0B4F4F12
	v_mul_f32_e32 v168, v22, v168                              // 000000008044: 0B515116
	v_mul_f32_e32 v169, v22, v169                              // 000000008048: 0B535316
	v_mul_f32_e32 v170, v22, v170                              // 00000000804C: 0B555516
	v_mul_f32_e32 v171, v22, v171                              // 000000008050: 0B575716
	v_mul_f32_dpp v168, v11, v168 row_newbcast:4 row_mask:0xf bank_mask:0xf// 000000008054: 0B5150FA FF01540B
	v_mul_f32_dpp v169, v11, v169 row_newbcast:5 row_mask:0xf bank_mask:0xf// 00000000805C: 0B5352FA FF01550B
	v_mul_f32_dpp v170, v11, v170 row_newbcast:6 row_mask:0xf bank_mask:0xf// 000000008064: 0B5554FA FF01560B
	v_mul_f32_dpp v171, v11, v171 row_newbcast:7 row_mask:0xf bank_mask:0xf// 00000000806C: 0B5756FA FF01570B
	v_mul_f32_e32 v168, v17, v168                              // 000000008074: 0B515111
	v_mul_f32_e32 v169, v17, v169                              // 000000008078: 0B535311
	v_mul_f32_e32 v170, v17, v170                              // 00000000807C: 0B555511
	v_mul_f32_e32 v171, v17, v171                              // 000000008080: 0B575711
	v_mul_f32_e32 v172, v23, v172                              // 000000008084: 0B595917
	v_mul_f32_e32 v173, v23, v173                              // 000000008088: 0B5B5B17
	v_mul_f32_e32 v174, v23, v174                              // 00000000808C: 0B5D5D17
	v_mul_f32_e32 v175, v23, v175                              // 000000008090: 0B5F5F17
	v_mul_f32_dpp v172, v11, v172 row_newbcast:4 row_mask:0xf bank_mask:0xf// 000000008094: 0B5958FA FF01540B
	v_mul_f32_dpp v173, v11, v173 row_newbcast:5 row_mask:0xf bank_mask:0xf// 00000000809C: 0B5B5AFA FF01550B
	v_mul_f32_dpp v174, v11, v174 row_newbcast:6 row_mask:0xf bank_mask:0xf// 0000000080A4: 0B5D5CFA FF01560B
	v_mul_f32_dpp v175, v11, v175 row_newbcast:7 row_mask:0xf bank_mask:0xf// 0000000080AC: 0B5F5EFA FF01570B
	v_mul_f32_e32 v172, v18, v172                              // 0000000080B4: 0B595912
	v_mul_f32_e32 v173, v18, v173                              // 0000000080B8: 0B5B5B12
	v_mul_f32_e32 v174, v18, v174                              // 0000000080BC: 0B5D5D12
	v_mul_f32_e32 v175, v18, v175                              // 0000000080C0: 0B5F5F12
	v_mul_f32_e32 v176, v22, v176                              // 0000000080C4: 0B616116
	v_mul_f32_e32 v177, v22, v177                              // 0000000080C8: 0B636316
	v_mul_f32_e32 v178, v22, v178                              // 0000000080CC: 0B656516
	v_mul_f32_e32 v179, v22, v179                              // 0000000080D0: 0B676716
	v_mul_f32_dpp v176, v11, v176 row_newbcast:8 row_mask:0xf bank_mask:0xf// 0000000080D4: 0B6160FA FF01580B
	v_mul_f32_dpp v177, v11, v177 row_newbcast:9 row_mask:0xf bank_mask:0xf// 0000000080DC: 0B6362FA FF01590B
	v_mul_f32_dpp v178, v11, v178 row_newbcast:10 row_mask:0xf bank_mask:0xf// 0000000080E4: 0B6564FA FF015A0B
	v_mul_f32_dpp v179, v11, v179 row_newbcast:11 row_mask:0xf bank_mask:0xf// 0000000080EC: 0B6766FA FF015B0B
	v_mul_f32_e32 v176, v17, v176                              // 0000000080F4: 0B616111
	v_mul_f32_e32 v177, v17, v177                              // 0000000080F8: 0B636311
	v_mul_f32_e32 v178, v17, v178                              // 0000000080FC: 0B656511
	v_mul_f32_e32 v179, v17, v179                              // 000000008100: 0B676711
	v_mul_f32_e32 v180, v23, v180                              // 000000008104: 0B696917
	v_mul_f32_e32 v181, v23, v181                              // 000000008108: 0B6B6B17
	v_mul_f32_e32 v182, v23, v182                              // 00000000810C: 0B6D6D17
	v_mul_f32_e32 v183, v23, v183                              // 000000008110: 0B6F6F17
	v_mul_f32_dpp v180, v11, v180 row_newbcast:8 row_mask:0xf bank_mask:0xf// 000000008114: 0B6968FA FF01580B
	v_mul_f32_dpp v181, v11, v181 row_newbcast:9 row_mask:0xf bank_mask:0xf// 00000000811C: 0B6B6AFA FF01590B
	v_mul_f32_dpp v182, v11, v182 row_newbcast:10 row_mask:0xf bank_mask:0xf// 000000008124: 0B6D6CFA FF015A0B
	v_mul_f32_dpp v183, v11, v183 row_newbcast:11 row_mask:0xf bank_mask:0xf// 00000000812C: 0B6F6EFA FF015B0B
	v_mul_f32_e32 v180, v18, v180                              // 000000008134: 0B696912
	v_mul_f32_e32 v181, v18, v181                              // 000000008138: 0B6B6B12
	v_mul_f32_e32 v182, v18, v182                              // 00000000813C: 0B6D6D12
	v_mul_f32_e32 v183, v18, v183                              // 000000008140: 0B6F6F12
	v_mul_f32_e32 v184, v22, v184                              // 000000008144: 0B717116
	v_mul_f32_e32 v185, v22, v185                              // 000000008148: 0B737316
	v_mul_f32_e32 v186, v22, v186                              // 00000000814C: 0B757516
	v_mul_f32_e32 v187, v22, v187                              // 000000008150: 0B777716
	v_mul_f32_dpp v184, v11, v184 row_newbcast:12 row_mask:0xf bank_mask:0xf// 000000008154: 0B7170FA FF015C0B
	v_mul_f32_dpp v185, v11, v185 row_newbcast:13 row_mask:0xf bank_mask:0xf// 00000000815C: 0B7372FA FF015D0B
	v_mul_f32_dpp v186, v11, v186 row_newbcast:14 row_mask:0xf bank_mask:0xf// 000000008164: 0B7574FA FF015E0B
	v_mul_f32_dpp v187, v11, v187 row_newbcast:15 row_mask:0xf bank_mask:0xf// 00000000816C: 0B7776FA FF015F0B
	v_mul_f32_e32 v184, v17, v184                              // 000000008174: 0B717111
	v_mul_f32_e32 v185, v17, v185                              // 000000008178: 0B737311
	v_mul_f32_e32 v186, v17, v186                              // 00000000817C: 0B757511
	v_mul_f32_e32 v187, v17, v187                              // 000000008180: 0B777711
	v_mul_f32_e32 v188, v23, v188                              // 000000008184: 0B797917
	v_mul_f32_e32 v189, v23, v189                              // 000000008188: 0B7B7B17
	v_mul_f32_e32 v190, v23, v190                              // 00000000818C: 0B7D7D17
	v_mul_f32_e32 v191, v23, v191                              // 000000008190: 0B7F7F17
	v_mul_f32_dpp v188, v11, v188 row_newbcast:12 row_mask:0xf bank_mask:0xf// 000000008194: 0B7978FA FF015C0B
	v_mul_f32_dpp v189, v11, v189 row_newbcast:13 row_mask:0xf bank_mask:0xf// 00000000819C: 0B7B7AFA FF015D0B
	v_mul_f32_dpp v190, v11, v190 row_newbcast:14 row_mask:0xf bank_mask:0xf// 0000000081A4: 0B7D7CFA FF015E0B
	v_mul_f32_dpp v191, v11, v191 row_newbcast:15 row_mask:0xf bank_mask:0xf// 0000000081AC: 0B7F7EFA FF015F0B
	v_mul_f32_e32 v188, v18, v188                              // 0000000081B4: 0B797912
	v_mul_f32_e32 v189, v18, v189                              // 0000000081B8: 0B7B7B12
	v_mul_f32_e32 v190, v18, v190                              // 0000000081BC: 0B7D7D12
	v_mul_f32_e32 v191, v18, v191                              // 0000000081C0: 0B7F7F12
	v_cmp_u_f32_e64 s[48:49], v160, v160                       // 0000000081C4: D0480030 000341A0
	v_add3_u32 v40, v160, v43, 1                               // 0000000081CC: D1FF0028 020657A0
	v_cndmask_b32_e64 v46, v40, v42, s[48:49]                  // 0000000081D4: D100002E 00C25528
	v_cmp_u_f32_e64 s[48:49], v161, v161                       // 0000000081DC: D0480030 000343A1
	v_add3_u32 v40, v161, v43, 1                               // 0000000081E4: D1FF0028 020657A1
	v_cndmask_b32_e64 v47, v40, v42, s[48:49]                  // 0000000081EC: D100002F 00C25528
	v_perm_b32 v160, v47, v46, s52                             // 0000000081F4: D1ED00A0 00D25D2F
	v_cmp_u_f32_e64 s[48:49], v162, v162                       // 0000000081FC: D0480030 000345A2
	v_add3_u32 v40, v162, v43, 1                               // 000000008204: D1FF0028 020657A2
	v_cndmask_b32_e64 v46, v40, v42, s[48:49]                  // 00000000820C: D100002E 00C25528
	v_cmp_u_f32_e64 s[48:49], v163, v163                       // 000000008214: D0480030 000347A3
	v_add3_u32 v40, v163, v43, 1                               // 00000000821C: D1FF0028 020657A3
	v_cndmask_b32_e64 v47, v40, v42, s[48:49]                  // 000000008224: D100002F 00C25528
	v_perm_b32 v161, v47, v46, s52                             // 00000000822C: D1ED00A1 00D25D2F
	v_cmp_u_f32_e64 s[48:49], v164, v164                       // 000000008234: D0480030 000349A4
	v_add3_u32 v40, v164, v43, 1                               // 00000000823C: D1FF0028 020657A4
	v_cndmask_b32_e64 v46, v40, v42, s[48:49]                  // 000000008244: D100002E 00C25528
	v_cmp_u_f32_e64 s[48:49], v165, v165                       // 00000000824C: D0480030 00034BA5
	v_add3_u32 v40, v165, v43, 1                               // 000000008254: D1FF0028 020657A5
	v_cndmask_b32_e64 v47, v40, v42, s[48:49]                  // 00000000825C: D100002F 00C25528
	v_perm_b32 v162, v47, v46, s52                             // 000000008264: D1ED00A2 00D25D2F
	v_cmp_u_f32_e64 s[48:49], v166, v166                       // 00000000826C: D0480030 00034DA6
	v_add3_u32 v40, v166, v43, 1                               // 000000008274: D1FF0028 020657A6
	v_cndmask_b32_e64 v46, v40, v42, s[48:49]                  // 00000000827C: D100002E 00C25528
	v_cmp_u_f32_e64 s[48:49], v167, v167                       // 000000008284: D0480030 00034FA7
	v_add3_u32 v40, v167, v43, 1                               // 00000000828C: D1FF0028 020657A7
	v_cndmask_b32_e64 v47, v40, v42, s[48:49]                  // 000000008294: D100002F 00C25528
	v_perm_b32 v163, v47, v46, s52                             // 00000000829C: D1ED00A3 00D25D2F
	v_cmp_u_f32_e64 s[48:49], v168, v168                       // 0000000082A4: D0480030 000351A8
	v_add3_u32 v40, v168, v43, 1                               // 0000000082AC: D1FF0028 020657A8
	v_cndmask_b32_e64 v46, v40, v42, s[48:49]                  // 0000000082B4: D100002E 00C25528
	v_cmp_u_f32_e64 s[48:49], v169, v169                       // 0000000082BC: D0480030 000353A9
	v_add3_u32 v40, v169, v43, 1                               // 0000000082C4: D1FF0028 020657A9
	v_cndmask_b32_e64 v47, v40, v42, s[48:49]                  // 0000000082CC: D100002F 00C25528
	v_perm_b32 v164, v47, v46, s52                             // 0000000082D4: D1ED00A4 00D25D2F
	v_cmp_u_f32_e64 s[48:49], v170, v170                       // 0000000082DC: D0480030 000355AA
	v_add3_u32 v40, v170, v43, 1                               // 0000000082E4: D1FF0028 020657AA
	v_cndmask_b32_e64 v46, v40, v42, s[48:49]                  // 0000000082EC: D100002E 00C25528
	v_cmp_u_f32_e64 s[48:49], v171, v171                       // 0000000082F4: D0480030 000357AB
	v_add3_u32 v40, v171, v43, 1                               // 0000000082FC: D1FF0028 020657AB
	v_cndmask_b32_e64 v47, v40, v42, s[48:49]                  // 000000008304: D100002F 00C25528
	v_perm_b32 v165, v47, v46, s52                             // 00000000830C: D1ED00A5 00D25D2F
	v_cmp_u_f32_e64 s[48:49], v172, v172                       // 000000008314: D0480030 000359AC
	v_add3_u32 v40, v172, v43, 1                               // 00000000831C: D1FF0028 020657AC
	v_cndmask_b32_e64 v46, v40, v42, s[48:49]                  // 000000008324: D100002E 00C25528
	v_cmp_u_f32_e64 s[48:49], v173, v173                       // 00000000832C: D0480030 00035BAD
	v_add3_u32 v40, v173, v43, 1                               // 000000008334: D1FF0028 020657AD
	v_cndmask_b32_e64 v47, v40, v42, s[48:49]                  // 00000000833C: D100002F 00C25528
	v_perm_b32 v166, v47, v46, s52                             // 000000008344: D1ED00A6 00D25D2F
	v_cmp_u_f32_e64 s[48:49], v174, v174                       // 00000000834C: D0480030 00035DAE
	v_add3_u32 v40, v174, v43, 1                               // 000000008354: D1FF0028 020657AE
	v_cndmask_b32_e64 v46, v40, v42, s[48:49]                  // 00000000835C: D100002E 00C25528
	v_cmp_u_f32_e64 s[48:49], v175, v175                       // 000000008364: D0480030 00035FAF
	v_add3_u32 v40, v175, v43, 1                               // 00000000836C: D1FF0028 020657AF
	v_cndmask_b32_e64 v47, v40, v42, s[48:49]                  // 000000008374: D100002F 00C25528
	v_perm_b32 v167, v47, v46, s52                             // 00000000837C: D1ED00A7 00D25D2F
	v_cmp_u_f32_e64 s[48:49], v176, v176                       // 000000008384: D0480030 000361B0
	v_add3_u32 v40, v176, v43, 1                               // 00000000838C: D1FF0028 020657B0
	v_cndmask_b32_e64 v46, v40, v42, s[48:49]                  // 000000008394: D100002E 00C25528
	v_cmp_u_f32_e64 s[48:49], v177, v177                       // 00000000839C: D0480030 000363B1
	v_add3_u32 v40, v177, v43, 1                               // 0000000083A4: D1FF0028 020657B1
	v_cndmask_b32_e64 v47, v40, v42, s[48:49]                  // 0000000083AC: D100002F 00C25528
	v_perm_b32 v168, v47, v46, s52                             // 0000000083B4: D1ED00A8 00D25D2F
	v_cmp_u_f32_e64 s[48:49], v178, v178                       // 0000000083BC: D0480030 000365B2
	v_add3_u32 v40, v178, v43, 1                               // 0000000083C4: D1FF0028 020657B2
	v_cndmask_b32_e64 v46, v40, v42, s[48:49]                  // 0000000083CC: D100002E 00C25528
	v_cmp_u_f32_e64 s[48:49], v179, v179                       // 0000000083D4: D0480030 000367B3
	v_add3_u32 v40, v179, v43, 1                               // 0000000083DC: D1FF0028 020657B3
	v_cndmask_b32_e64 v47, v40, v42, s[48:49]                  // 0000000083E4: D100002F 00C25528
	v_perm_b32 v169, v47, v46, s52                             // 0000000083EC: D1ED00A9 00D25D2F
	v_cmp_u_f32_e64 s[48:49], v180, v180                       // 0000000083F4: D0480030 000369B4
	v_add3_u32 v40, v180, v43, 1                               // 0000000083FC: D1FF0028 020657B4
	v_cndmask_b32_e64 v46, v40, v42, s[48:49]                  // 000000008404: D100002E 00C25528
	v_cmp_u_f32_e64 s[48:49], v181, v181                       // 00000000840C: D0480030 00036BB5
	v_add3_u32 v40, v181, v43, 1                               // 000000008414: D1FF0028 020657B5
	v_cndmask_b32_e64 v47, v40, v42, s[48:49]                  // 00000000841C: D100002F 00C25528
	v_perm_b32 v170, v47, v46, s52                             // 000000008424: D1ED00AA 00D25D2F
	v_cmp_u_f32_e64 s[48:49], v182, v182                       // 00000000842C: D0480030 00036DB6
	v_add3_u32 v40, v182, v43, 1                               // 000000008434: D1FF0028 020657B6
	v_cndmask_b32_e64 v46, v40, v42, s[48:49]                  // 00000000843C: D100002E 00C25528
	v_cmp_u_f32_e64 s[48:49], v183, v183                       // 000000008444: D0480030 00036FB7
	v_add3_u32 v40, v183, v43, 1                               // 00000000844C: D1FF0028 020657B7
	v_cndmask_b32_e64 v47, v40, v42, s[48:49]                  // 000000008454: D100002F 00C25528
	v_perm_b32 v171, v47, v46, s52                             // 00000000845C: D1ED00AB 00D25D2F
	v_cmp_u_f32_e64 s[48:49], v184, v184                       // 000000008464: D0480030 000371B8
	v_add3_u32 v40, v184, v43, 1                               // 00000000846C: D1FF0028 020657B8
	v_cndmask_b32_e64 v46, v40, v42, s[48:49]                  // 000000008474: D100002E 00C25528
	v_cmp_u_f32_e64 s[48:49], v185, v185                       // 00000000847C: D0480030 000373B9
	v_add3_u32 v40, v185, v43, 1                               // 000000008484: D1FF0028 020657B9
	v_cndmask_b32_e64 v47, v40, v42, s[48:49]                  // 00000000848C: D100002F 00C25528
	v_perm_b32 v172, v47, v46, s52                             // 000000008494: D1ED00AC 00D25D2F
	v_cmp_u_f32_e64 s[48:49], v186, v186                       // 00000000849C: D0480030 000375BA
	v_add3_u32 v40, v186, v43, 1                               // 0000000084A4: D1FF0028 020657BA
	v_cndmask_b32_e64 v46, v40, v42, s[48:49]                  // 0000000084AC: D100002E 00C25528
	v_cmp_u_f32_e64 s[48:49], v187, v187                       // 0000000084B4: D0480030 000377BB
	v_add3_u32 v40, v187, v43, 1                               // 0000000084BC: D1FF0028 020657BB
	v_cndmask_b32_e64 v47, v40, v42, s[48:49]                  // 0000000084C4: D100002F 00C25528
	v_perm_b32 v173, v47, v46, s52                             // 0000000084CC: D1ED00AD 00D25D2F
	v_cmp_u_f32_e64 s[48:49], v188, v188                       // 0000000084D4: D0480030 000379BC
	v_add3_u32 v40, v188, v43, 1                               // 0000000084DC: D1FF0028 020657BC
	v_cndmask_b32_e64 v46, v40, v42, s[48:49]                  // 0000000084E4: D100002E 00C25528
	v_cmp_u_f32_e64 s[48:49], v189, v189                       // 0000000084EC: D0480030 00037BBD
	v_add3_u32 v40, v189, v43, 1                               // 0000000084F4: D1FF0028 020657BD
	v_cndmask_b32_e64 v47, v40, v42, s[48:49]                  // 0000000084FC: D100002F 00C25528
	v_perm_b32 v174, v47, v46, s52                             // 000000008504: D1ED00AE 00D25D2F
	v_cmp_u_f32_e64 s[48:49], v190, v190                       // 00000000850C: D0480030 00037DBE
	v_add3_u32 v40, v190, v43, 1                               // 000000008514: D1FF0028 020657BE
	v_cndmask_b32_e64 v46, v40, v42, s[48:49]                  // 00000000851C: D100002E 00C25528
	v_cmp_u_f32_e64 s[48:49], v191, v191                       // 000000008524: D0480030 00037FBF
	v_add3_u32 v40, v191, v43, 1                               // 00000000852C: D1FF0028 020657BF
	v_cndmask_b32_e64 v47, v40, v42, s[48:49]                  // 000000008534: D100002F 00C25528
	v_perm_b32 v175, v47, v46, s52                             // 00000000853C: D1ED00AF 00D25D2F
	ds_write_b64 v3, v[160:161] offset:26880                   // 000000008544: D89A6900 0000A003
	ds_write_b64 v3, v[162:163] offset:35584                   // 00000000854C: D89A8B00 0000A203
	ds_write_b64 v3, v[164:165] offset:29056                   // 000000008554: D89A7180 0000A403
	ds_write_b64 v3, v[166:167] offset:37760                   // 00000000855C: D89A9380 0000A603
	ds_write_b64 v3, v[168:169] offset:31232                   // 000000008564: D89A7A00 0000A803
	ds_write_b64 v3, v[170:171] offset:39936                   // 00000000856C: D89A9C00 0000AA03
	ds_write_b64 v3, v[172:173] offset:33408                   // 000000008574: D89A8280 0000AC03
	ds_write_b64 v3, v[174:175] offset:42112                   // 00000000857C: D89AA480 0000AE03
	s_waitcnt lgkmcnt(0)                                       // 000000008584: BF8CC07F
	s_barrier                                                  // 000000008588: BF8A0000
	ds_read_b32 v64, v4 offset:26880                           // 00000000858C: D86C6900 40000004
	ds_read_b32 v65, v4 offset:31232                           // 000000008594: D86C7A00 41000004
	ds_read_b32 v66, v4 offset:26912                           // 00000000859C: D86C6920 42000004
	ds_read_b32 v67, v4 offset:31264                           // 0000000085A4: D86C7A20 43000004
	ds_read_b32 v68, v4 offset:26944                           // 0000000085AC: D86C6940 44000004
	ds_read_b32 v69, v4 offset:31296                           // 0000000085B4: D86C7A40 45000004
	ds_read_b32 v70, v4 offset:26976                           // 0000000085BC: D86C6960 46000004
	ds_read_b32 v71, v4 offset:31328                           // 0000000085C4: D86C7A60 47000004
	ds_read_b32 v72, v4 offset:35584                           // 0000000085CC: D86C8B00 48000004
	ds_read_b32 v73, v4 offset:39936                           // 0000000085D4: D86C9C00 49000004
	ds_read_b32 v74, v4 offset:35616                           // 0000000085DC: D86C8B20 4A000004
	ds_read_b32 v75, v4 offset:39968                           // 0000000085E4: D86C9C20 4B000004
	ds_read_b32 v76, v4 offset:35648                           // 0000000085EC: D86C8B40 4C000004
	ds_read_b32 v77, v4 offset:40000                           // 0000000085F4: D86C9C40 4D000004
	ds_read_b32 v78, v4 offset:35680                           // 0000000085FC: D86C8B60 4E000004
	ds_read_b32 v79, v4 offset:40032                           // 000000008604: D86C9C60 4F000004
	s_waitcnt lgkmcnt(0)                                       // 00000000860C: BF8CC07F
	s_mov_b64 exec, s[20:21]                                   // 000000008610: BEFE0114
	global_atomic_pk_add_bf16 v80, v64, s[8:9]                 // 000000008614: DD488000 00084050
	s_mov_b64 exec, s[36:37]                                   // 00000000861C: BEFE0124
	s_mov_b64 exec, s[20:21]                                   // 000000008620: BEFE0114
	global_atomic_pk_add_bf16 v80, v65, s[8:9] offset:256      // 000000008624: DD488100 00084150
	s_mov_b64 exec, s[36:37]                                   // 00000000862C: BEFE0124
	s_mov_b64 exec, s[22:23]                                   // 000000008630: BEFE0116
	global_atomic_pk_add_bf16 v82, v66, s[8:9]                 // 000000008634: DD488000 00084252
	s_mov_b64 exec, s[36:37]                                   // 00000000863C: BEFE0124
	s_mov_b64 exec, s[22:23]                                   // 000000008640: BEFE0116
	global_atomic_pk_add_bf16 v82, v67, s[8:9] offset:256      // 000000008644: DD488100 00084352
	s_mov_b64 exec, s[36:37]                                   // 00000000864C: BEFE0124
	s_mov_b64 exec, s[24:25]                                   // 000000008650: BEFE0118
	global_atomic_pk_add_bf16 v84, v68, s[8:9]                 // 000000008654: DD488000 00084454
	s_mov_b64 exec, s[36:37]                                   // 00000000865C: BEFE0124
	s_mov_b64 exec, s[24:25]                                   // 000000008660: BEFE0118
	global_atomic_pk_add_bf16 v84, v69, s[8:9] offset:256      // 000000008664: DD488100 00084554
	s_mov_b64 exec, s[36:37]                                   // 00000000866C: BEFE0124
	s_mov_b64 exec, s[26:27]                                   // 000000008670: BEFE011A
	global_atomic_pk_add_bf16 v86, v70, s[8:9]                 // 000000008674: DD488000 00084656
	s_mov_b64 exec, s[36:37]                                   // 00000000867C: BEFE0124
	s_mov_b64 exec, s[26:27]                                   // 000000008680: BEFE011A
	global_atomic_pk_add_bf16 v86, v71, s[8:9] offset:256      // 000000008684: DD488100 00084756
	s_mov_b64 exec, s[36:37]                                   // 00000000868C: BEFE0124
	s_mov_b64 exec, s[28:29]                                   // 000000008690: BEFE011C
	global_atomic_pk_add_bf16 v88, v72, s[8:9]                 // 000000008694: DD488000 00084858
	s_mov_b64 exec, s[36:37]                                   // 00000000869C: BEFE0124
	s_mov_b64 exec, s[28:29]                                   // 0000000086A0: BEFE011C
	global_atomic_pk_add_bf16 v88, v73, s[8:9] offset:256      // 0000000086A4: DD488100 00084958
	s_mov_b64 exec, s[36:37]                                   // 0000000086AC: BEFE0124
	s_mov_b64 exec, s[30:31]                                   // 0000000086B0: BEFE011E
	global_atomic_pk_add_bf16 v90, v74, s[8:9]                 // 0000000086B4: DD488000 00084A5A
	s_mov_b64 exec, s[36:37]                                   // 0000000086BC: BEFE0124
	s_mov_b64 exec, s[30:31]                                   // 0000000086C0: BEFE011E
	global_atomic_pk_add_bf16 v90, v75, s[8:9] offset:256      // 0000000086C4: DD488100 00084B5A
	s_mov_b64 exec, s[36:37]                                   // 0000000086CC: BEFE0124
	s_mov_b64 exec, s[32:33]                                   // 0000000086D0: BEFE0120
	global_atomic_pk_add_bf16 v92, v76, s[8:9]                 // 0000000086D4: DD488000 00084C5C
	s_mov_b64 exec, s[36:37]                                   // 0000000086DC: BEFE0124
	s_mov_b64 exec, s[32:33]                                   // 0000000086E0: BEFE0120
	global_atomic_pk_add_bf16 v92, v77, s[8:9] offset:256      // 0000000086E4: DD488100 00084D5C
	s_mov_b64 exec, s[36:37]                                   // 0000000086EC: BEFE0124
	s_mov_b64 exec, s[34:35]                                   // 0000000086F0: BEFE0122
	global_atomic_pk_add_bf16 v94, v78, s[8:9]                 // 0000000086F4: DD488000 00084E5E
	s_mov_b64 exec, s[36:37]                                   // 0000000086FC: BEFE0124
	s_mov_b64 exec, s[34:35]                                   // 000000008700: BEFE0122
	global_atomic_pk_add_bf16 v94, v79, s[8:9] offset:256      // 000000008704: DD488100 00084F5E
	s_mov_b64 exec, s[36:37]                                   // 00000000870C: BEFE0124
	s_add_u32 s8, s59, s8                                      // 000000008710: 8008083B
	s_addc_u32 s9, 0, s9                                       // 000000008714: 82090980
	s_addk_i32 s80, 0x100                                      // 000000008718: B7500100
	s_cmp_lt_i32 s80, s81                                      // 00000000871C: BF045150
	s_cbranch_scc0 label_0E04                                  // 000000008720: BF84F6FB
	s_waitcnt vmcnt(29)                                        // 000000008724: BF8C4F7D
	s_barrier                                                  // 000000008728: BF8A0000
	v_mfma_f32_16x16x32_fp8_fp8 v[192:195], a[64:65], v[128:129], 0// 00000000872C: D3F300C0 0A030140
	buffer_load_dwordx4 a[0:3], v36, s[12:15], 0 offen         // 000000008734: E05C1000 80830024
	v_mfma_f32_16x16x32_fp8_fp8 v[192:195], a[66:67], v[130:131], v[192:195]// 00000000873C: D3F300C0 0F030542
	v_mfma_f32_16x16x32_fp8_fp8 v[196:199], a[64:65], v[144:145], 0// 000000008744: D3F300C4 0A032140
	v_mfma_f32_16x16x32_fp8_fp8 v[196:199], a[66:67], v[146:147], v[196:199]// 00000000874C: D3F300C4 0F132542
	v_mfma_f32_16x16x32_fp8_fp8 v[200:203], a[68:69], v[128:129], 0// 000000008754: D3F300C8 0A030144
	buffer_load_dwordx4 a[4:7], v37, s[12:15], 0 offen         // 00000000875C: E05C1000 80830425
	v_mfma_f32_16x16x32_fp8_fp8 v[200:203], a[70:71], v[130:131], v[200:203]// 000000008764: D3F300C8 0F230546
	v_mfma_f32_16x16x32_fp8_fp8 v[204:207], a[68:69], v[144:145], 0// 00000000876C: D3F300CC 0A032144
	v_mfma_f32_16x16x32_fp8_fp8 v[204:207], a[70:71], v[146:147], v[204:207]// 000000008774: D3F300CC 0F332546
	v_mfma_f32_16x16x32_fp8_fp8 v[208:211], a[72:73], v[128:129], 0// 00000000877C: D3F300D0 0A030148
	buffer_load_dwordx4 a[8:11], v38, s[12:15], 0 offen        // 000000008784: E05C1000 80830826
	v_mfma_f32_16x16x32_fp8_fp8 v[208:211], a[74:75], v[130:131], v[208:211]// 00000000878C: D3F300D0 0F43054A
	v_mfma_f32_16x16x32_fp8_fp8 v[212:215], a[72:73], v[144:145], 0// 000000008794: D3F300D4 0A032148
	v_mfma_f32_16x16x32_fp8_fp8 v[212:215], a[74:75], v[146:147], v[212:215]// 00000000879C: D3F300D4 0F53254A
	v_mfma_f32_16x16x32_fp8_fp8 v[216:219], a[76:77], v[128:129], 0// 0000000087A4: D3F300D8 0A03014C
	buffer_load_dwordx4 a[12:15], v39, s[12:15], 0 offen       // 0000000087AC: E05C1000 80830C27
	s_add_u32 s12, s78, s12                                    // 0000000087B4: 800C0C4E
	s_addc_u32 s13, 0, s13                                     // 0000000087B8: 820D0D80
	v_mfma_f32_16x16x32_fp8_fp8 v[216:219], a[78:79], v[130:131], v[216:219]// 0000000087BC: D3F300D8 0F63054E
	v_mfma_f32_16x16x32_fp8_fp8 v[220:223], a[76:77], v[144:145], 0// 0000000087C4: D3F300DC 0A03214C
	v_mfma_f32_16x16x32_fp8_fp8 v[220:223], a[78:79], v[146:147], v[220:223]// 0000000087CC: D3F300DC 0F73254E
	s_waitcnt vmcnt(29)                                        // 0000000087D4: BF8C4F7D
	v_mfma_f32_16x16x32_fp8_fp8 v[192:195], a[80:81], v[132:133], v[192:195]// 0000000087D8: D3F300C0 0F030950
	buffer_load_dwordx4 a[16:19], v36, s[12:15], 0 offen       // 0000000087E0: E05C1000 80831024
	v_mfma_f32_16x16x32_fp8_fp8 v[192:195], a[82:83], v[134:135], v[192:195]// 0000000087E8: D3F300C0 0F030D52
	v_mfma_f32_16x16x32_fp8_fp8 v[196:199], a[80:81], v[148:149], v[196:199]// 0000000087F0: D3F300C4 0F132950
	v_mfma_f32_16x16x32_fp8_fp8 v[196:199], a[82:83], v[150:151], v[196:199]// 0000000087F8: D3F300C4 0F132D52
	v_mfma_f32_16x16x32_fp8_fp8 v[200:203], a[84:85], v[132:133], v[200:203]// 000000008800: D3F300C8 0F230954
	buffer_load_dwordx4 a[20:23], v37, s[12:15], 0 offen       // 000000008808: E05C1000 80831425
	v_mfma_f32_16x16x32_fp8_fp8 v[200:203], a[86:87], v[134:135], v[200:203]// 000000008810: D3F300C8 0F230D56
	v_mfma_f32_16x16x32_fp8_fp8 v[204:207], a[84:85], v[148:149], v[204:207]// 000000008818: D3F300CC 0F332954
	v_mfma_f32_16x16x32_fp8_fp8 v[204:207], a[86:87], v[150:151], v[204:207]// 000000008820: D3F300CC 0F332D56
	v_mfma_f32_16x16x32_fp8_fp8 v[208:211], a[88:89], v[132:133], v[208:211]// 000000008828: D3F300D0 0F430958
	buffer_load_dwordx4 a[24:27], v38, s[12:15], 0 offen       // 000000008830: E05C1000 80831826
	v_mfma_f32_16x16x32_fp8_fp8 v[208:211], a[90:91], v[134:135], v[208:211]// 000000008838: D3F300D0 0F430D5A
	v_mfma_f32_16x16x32_fp8_fp8 v[212:215], a[88:89], v[148:149], v[212:215]// 000000008840: D3F300D4 0F532958
	v_mfma_f32_16x16x32_fp8_fp8 v[212:215], a[90:91], v[150:151], v[212:215]// 000000008848: D3F300D4 0F532D5A
	v_mfma_f32_16x16x32_fp8_fp8 v[216:219], a[92:93], v[132:133], v[216:219]// 000000008850: D3F300D8 0F63095C
	buffer_load_dwordx4 a[28:31], v39, s[12:15], 0 offen       // 000000008858: E05C1000 80831C27
	s_add_u32 s12, s78, s12                                    // 000000008860: 800C0C4E
	s_addc_u32 s13, 0, s13                                     // 000000008864: 820D0D80
	v_mfma_f32_16x16x32_fp8_fp8 v[216:219], a[94:95], v[134:135], v[216:219]// 000000008868: D3F300D8 0F630D5E
	v_mfma_f32_16x16x32_fp8_fp8 v[220:223], a[92:93], v[148:149], v[220:223]// 000000008870: D3F300DC 0F73295C
	v_mfma_f32_16x16x32_fp8_fp8 v[220:223], a[94:95], v[150:151], v[220:223]// 000000008878: D3F300DC 0F732D5E
	s_waitcnt vmcnt(29)                                        // 000000008880: BF8C4F7D
	v_mfma_f32_16x16x32_fp8_fp8 v[192:195], a[96:97], v[136:137], v[192:195]// 000000008884: D3F300C0 0F031160
	buffer_load_dwordx4 a[32:35], v36, s[12:15], 0 offen       // 00000000888C: E05C1000 80832024
	v_mfma_f32_16x16x32_fp8_fp8 v[192:195], a[98:99], v[138:139], v[192:195]// 000000008894: D3F300C0 0F031562
	v_mfma_f32_16x16x32_fp8_fp8 v[196:199], a[96:97], v[152:153], v[196:199]// 00000000889C: D3F300C4 0F133160
	v_mfma_f32_16x16x32_fp8_fp8 v[196:199], a[98:99], v[154:155], v[196:199]// 0000000088A4: D3F300C4 0F133562
	v_mfma_f32_16x16x32_fp8_fp8 v[200:203], a[100:101], v[136:137], v[200:203]// 0000000088AC: D3F300C8 0F231164
	buffer_load_dwordx4 a[36:39], v37, s[12:15], 0 offen       // 0000000088B4: E05C1000 80832425
	v_mfma_f32_16x16x32_fp8_fp8 v[200:203], a[102:103], v[138:139], v[200:203]// 0000000088BC: D3F300C8 0F231566
	v_mfma_f32_16x16x32_fp8_fp8 v[204:207], a[100:101], v[152:153], v[204:207]// 0000000088C4: D3F300CC 0F333164
	v_mfma_f32_16x16x32_fp8_fp8 v[204:207], a[102:103], v[154:155], v[204:207]// 0000000088CC: D3F300CC 0F333566
	v_mfma_f32_16x16x32_fp8_fp8 v[208:211], a[104:105], v[136:137], v[208:211]// 0000000088D4: D3F300D0 0F431168
	buffer_load_dwordx4 a[40:43], v38, s[12:15], 0 offen       // 0000000088DC: E05C1000 80832826
	v_mfma_f32_16x16x32_fp8_fp8 v[208:211], a[106:107], v[138:139], v[208:211]// 0000000088E4: D3F300D0 0F43156A
	v_mfma_f32_16x16x32_fp8_fp8 v[212:215], a[104:105], v[152:153], v[212:215]// 0000000088EC: D3F300D4 0F533168
	v_mfma_f32_16x16x32_fp8_fp8 v[212:215], a[106:107], v[154:155], v[212:215]// 0000000088F4: D3F300D4 0F53356A
	v_mfma_f32_16x16x32_fp8_fp8 v[216:219], a[108:109], v[136:137], v[216:219]// 0000000088FC: D3F300D8 0F63116C
	buffer_load_dwordx4 a[44:47], v39, s[12:15], 0 offen       // 000000008904: E05C1000 80832C27
	s_add_u32 s12, s78, s12                                    // 00000000890C: 800C0C4E
	s_addc_u32 s13, 0, s13                                     // 000000008910: 820D0D80
	v_mfma_f32_16x16x32_fp8_fp8 v[216:219], a[110:111], v[138:139], v[216:219]// 000000008914: D3F300D8 0F63156E
	v_mfma_f32_16x16x32_fp8_fp8 v[220:223], a[108:109], v[152:153], v[220:223]// 00000000891C: D3F300DC 0F73316C
	v_mfma_f32_16x16x32_fp8_fp8 v[220:223], a[110:111], v[154:155], v[220:223]// 000000008924: D3F300DC 0F73356E
	s_waitcnt vmcnt(28)                                        // 00000000892C: BF8C4F7C
	v_mfma_f32_16x16x32_fp8_fp8 v[192:195], a[112:113], v[140:141], v[192:195]// 000000008930: D3F300C0 0F031970
	buffer_load_dwordx4 a[48:51], v36, s[12:15], 0 offen       // 000000008938: E05C1000 80833024
	v_mfma_f32_16x16x32_fp8_fp8 v[192:195], a[114:115], v[142:143], v[192:195]// 000000008940: D3F300C0 0F031D72
	v_mfma_f32_16x16x32_fp8_fp8 v[196:199], a[112:113], v[156:157], v[196:199]// 000000008948: D3F300C4 0F133970
	buffer_load_dword v11, v5, s[16:19], 0 offen               // 000000008950: E0501000 80040B05
	v_mfma_f32_16x16x32_fp8_fp8 v[196:199], a[114:115], v[158:159], v[196:199]// 000000008958: D3F300C4 0F133D72
	v_mfma_f32_16x16x32_fp8_fp8 v[200:203], a[116:117], v[140:141], v[200:203]// 000000008960: D3F300C8 0F231974
	buffer_load_dwordx4 a[52:55], v37, s[12:15], 0 offen       // 000000008968: E05C1000 80833425
	v_mfma_f32_16x16x32_fp8_fp8 v[200:203], a[118:119], v[142:143], v[200:203]// 000000008970: D3F300C8 0F231D76
	v_mfma_f32_16x16x32_fp8_fp8 v[204:207], a[116:117], v[156:157], v[204:207]// 000000008978: D3F300CC 0F333974
	v_mfma_f32_16x16x32_fp8_fp8 v[204:207], a[118:119], v[158:159], v[204:207]// 000000008980: D3F300CC 0F333D76
	v_mfma_f32_16x16x32_fp8_fp8 v[208:211], a[120:121], v[140:141], v[208:211]// 000000008988: D3F300D0 0F431978
	buffer_load_dwordx4 a[56:59], v38, s[12:15], 0 offen       // 000000008990: E05C1000 80833826
	v_mfma_f32_16x16x32_fp8_fp8 v[208:211], a[122:123], v[142:143], v[208:211]// 000000008998: D3F300D0 0F431D7A
	v_mfma_f32_16x16x32_fp8_fp8 v[212:215], a[120:121], v[156:157], v[212:215]// 0000000089A0: D3F300D4 0F533978
	v_mfma_f32_16x16x32_fp8_fp8 v[212:215], a[122:123], v[158:159], v[212:215]// 0000000089A8: D3F300D4 0F533D7A
	v_mfma_f32_16x16x32_fp8_fp8 v[216:219], a[124:125], v[140:141], v[216:219]// 0000000089B0: D3F300D8 0F63197C
	buffer_load_dwordx4 a[60:63], v39, s[12:15], 0 offen       // 0000000089B8: E05C1000 80833C27
	v_mfma_f32_16x16x32_fp8_fp8 v[216:219], a[126:127], v[142:143], v[216:219]// 0000000089C0: D3F300D8 0F631D7E
	v_mfma_f32_16x16x32_fp8_fp8 v[220:223], a[124:125], v[156:157], v[220:223]// 0000000089C8: D3F300DC 0F73397C
	v_mfma_f32_16x16x32_fp8_fp8 v[220:223], a[126:127], v[158:159], v[220:223]// 0000000089D0: D3F300DC 0F733D7E
	s_add_u32 s60, 0x200, s80                                  // 0000000089D8: 803C50FF 00000200
	s_cmp_lt_u32 s60, s81                                      // 0000000089E0: BF0A513C
	s_cselect_b32 s56, s56, 0                                  // 0000000089E4: 85388038
	s_cselect_b32 s78, s78, 0                                  // 0000000089E8: 854E804E
	s_cselect_b32 s79, s79, 0                                  // 0000000089EC: 854F804F
	s_add_u32 s12, s56, s12                                    // 0000000089F0: 800C0C38
	s_addc_u32 s13, 0, s13                                     // 0000000089F4: 820D0D80
	s_add_u32 s16, s79, s16                                    // 0000000089F8: 8010104F
	s_addc_u32 s17, 0, s17                                     // 0000000089FC: 82111180
	v_mul_f32_e32 v192, v22, v192                              // 000000008A00: 0B818116
	v_mul_f32_e32 v193, v22, v193                              // 000000008A04: 0B838316
	v_mul_f32_e32 v194, v22, v194                              // 000000008A08: 0B858516
	v_mul_f32_e32 v195, v22, v195                              // 000000008A0C: 0B878716
	v_mul_f32_dpp v192, v12, v192 row_newbcast:0 row_mask:0xf bank_mask:0xf// 000000008A10: 0B8180FA FF01500C
	v_mul_f32_dpp v193, v12, v193 row_newbcast:1 row_mask:0xf bank_mask:0xf// 000000008A18: 0B8382FA FF01510C
	v_mul_f32_dpp v194, v12, v194 row_newbcast:2 row_mask:0xf bank_mask:0xf// 000000008A20: 0B8584FA FF01520C
	v_mul_f32_dpp v195, v12, v195 row_newbcast:3 row_mask:0xf bank_mask:0xf// 000000008A28: 0B8786FA FF01530C
	v_mul_f32_e32 v192, v17, v192                              // 000000008A30: 0B818111
	v_mul_f32_e32 v193, v17, v193                              // 000000008A34: 0B838311
	v_mul_f32_e32 v194, v17, v194                              // 000000008A38: 0B858511
	v_mul_f32_e32 v195, v17, v195                              // 000000008A3C: 0B878711
	v_mul_f32_e32 v196, v23, v196                              // 000000008A40: 0B898917
	v_mul_f32_e32 v197, v23, v197                              // 000000008A44: 0B8B8B17
	v_mul_f32_e32 v198, v23, v198                              // 000000008A48: 0B8D8D17
	v_mul_f32_e32 v199, v23, v199                              // 000000008A4C: 0B8F8F17
	v_mul_f32_dpp v196, v12, v196 row_newbcast:0 row_mask:0xf bank_mask:0xf// 000000008A50: 0B8988FA FF01500C
	v_mul_f32_dpp v197, v12, v197 row_newbcast:1 row_mask:0xf bank_mask:0xf// 000000008A58: 0B8B8AFA FF01510C
	v_mul_f32_dpp v198, v12, v198 row_newbcast:2 row_mask:0xf bank_mask:0xf// 000000008A60: 0B8D8CFA FF01520C
	v_mul_f32_dpp v199, v12, v199 row_newbcast:3 row_mask:0xf bank_mask:0xf// 000000008A68: 0B8F8EFA FF01530C
	v_mul_f32_e32 v196, v18, v196                              // 000000008A70: 0B898912
	v_mul_f32_e32 v197, v18, v197                              // 000000008A74: 0B8B8B12
	v_mul_f32_e32 v198, v18, v198                              // 000000008A78: 0B8D8D12
	v_mul_f32_e32 v199, v18, v199                              // 000000008A7C: 0B8F8F12
	v_mul_f32_e32 v200, v22, v200                              // 000000008A80: 0B919116
	v_mul_f32_e32 v201, v22, v201                              // 000000008A84: 0B939316
	v_mul_f32_e32 v202, v22, v202                              // 000000008A88: 0B959516
	v_mul_f32_e32 v203, v22, v203                              // 000000008A8C: 0B979716
	v_mul_f32_dpp v200, v12, v200 row_newbcast:4 row_mask:0xf bank_mask:0xf// 000000008A90: 0B9190FA FF01540C
	v_mul_f32_dpp v201, v12, v201 row_newbcast:5 row_mask:0xf bank_mask:0xf// 000000008A98: 0B9392FA FF01550C
	v_mul_f32_dpp v202, v12, v202 row_newbcast:6 row_mask:0xf bank_mask:0xf// 000000008AA0: 0B9594FA FF01560C
	v_mul_f32_dpp v203, v12, v203 row_newbcast:7 row_mask:0xf bank_mask:0xf// 000000008AA8: 0B9796FA FF01570C
	v_mul_f32_e32 v200, v17, v200                              // 000000008AB0: 0B919111
	v_mul_f32_e32 v201, v17, v201                              // 000000008AB4: 0B939311
	v_mul_f32_e32 v202, v17, v202                              // 000000008AB8: 0B959511
	v_mul_f32_e32 v203, v17, v203                              // 000000008ABC: 0B979711
	v_mul_f32_e32 v204, v23, v204                              // 000000008AC0: 0B999917
	v_mul_f32_e32 v205, v23, v205                              // 000000008AC4: 0B9B9B17
	v_mul_f32_e32 v206, v23, v206                              // 000000008AC8: 0B9D9D17
	v_mul_f32_e32 v207, v23, v207                              // 000000008ACC: 0B9F9F17
	v_mul_f32_dpp v204, v12, v204 row_newbcast:4 row_mask:0xf bank_mask:0xf// 000000008AD0: 0B9998FA FF01540C
	v_mul_f32_dpp v205, v12, v205 row_newbcast:5 row_mask:0xf bank_mask:0xf// 000000008AD8: 0B9B9AFA FF01550C
	v_mul_f32_dpp v206, v12, v206 row_newbcast:6 row_mask:0xf bank_mask:0xf// 000000008AE0: 0B9D9CFA FF01560C
	v_mul_f32_dpp v207, v12, v207 row_newbcast:7 row_mask:0xf bank_mask:0xf// 000000008AE8: 0B9F9EFA FF01570C
	v_mul_f32_e32 v204, v18, v204                              // 000000008AF0: 0B999912
	v_mul_f32_e32 v205, v18, v205                              // 000000008AF4: 0B9B9B12
	v_mul_f32_e32 v206, v18, v206                              // 000000008AF8: 0B9D9D12
	v_mul_f32_e32 v207, v18, v207                              // 000000008AFC: 0B9F9F12
	v_mul_f32_e32 v208, v22, v208                              // 000000008B00: 0BA1A116
	v_mul_f32_e32 v209, v22, v209                              // 000000008B04: 0BA3A316
	v_mul_f32_e32 v210, v22, v210                              // 000000008B08: 0BA5A516
	v_mul_f32_e32 v211, v22, v211                              // 000000008B0C: 0BA7A716
	v_mul_f32_dpp v208, v12, v208 row_newbcast:8 row_mask:0xf bank_mask:0xf// 000000008B10: 0BA1A0FA FF01580C
	v_mul_f32_dpp v209, v12, v209 row_newbcast:9 row_mask:0xf bank_mask:0xf// 000000008B18: 0BA3A2FA FF01590C
	v_mul_f32_dpp v210, v12, v210 row_newbcast:10 row_mask:0xf bank_mask:0xf// 000000008B20: 0BA5A4FA FF015A0C
	v_mul_f32_dpp v211, v12, v211 row_newbcast:11 row_mask:0xf bank_mask:0xf// 000000008B28: 0BA7A6FA FF015B0C
	v_mul_f32_e32 v208, v17, v208                              // 000000008B30: 0BA1A111
	v_mul_f32_e32 v209, v17, v209                              // 000000008B34: 0BA3A311
	v_mul_f32_e32 v210, v17, v210                              // 000000008B38: 0BA5A511
	v_mul_f32_e32 v211, v17, v211                              // 000000008B3C: 0BA7A711
	v_mul_f32_e32 v212, v23, v212                              // 000000008B40: 0BA9A917
	v_mul_f32_e32 v213, v23, v213                              // 000000008B44: 0BABAB17
	v_mul_f32_e32 v214, v23, v214                              // 000000008B48: 0BADAD17
	v_mul_f32_e32 v215, v23, v215                              // 000000008B4C: 0BAFAF17
	v_mul_f32_dpp v212, v12, v212 row_newbcast:8 row_mask:0xf bank_mask:0xf// 000000008B50: 0BA9A8FA FF01580C
	v_mul_f32_dpp v213, v12, v213 row_newbcast:9 row_mask:0xf bank_mask:0xf// 000000008B58: 0BABAAFA FF01590C
	v_mul_f32_dpp v214, v12, v214 row_newbcast:10 row_mask:0xf bank_mask:0xf// 000000008B60: 0BADACFA FF015A0C
	v_mul_f32_dpp v215, v12, v215 row_newbcast:11 row_mask:0xf bank_mask:0xf// 000000008B68: 0BAFAEFA FF015B0C
	v_mul_f32_e32 v212, v18, v212                              // 000000008B70: 0BA9A912
	v_mul_f32_e32 v213, v18, v213                              // 000000008B74: 0BABAB12
	v_mul_f32_e32 v214, v18, v214                              // 000000008B78: 0BADAD12
	v_mul_f32_e32 v215, v18, v215                              // 000000008B7C: 0BAFAF12
	v_mul_f32_e32 v216, v22, v216                              // 000000008B80: 0BB1B116
	v_mul_f32_e32 v217, v22, v217                              // 000000008B84: 0BB3B316
	v_mul_f32_e32 v218, v22, v218                              // 000000008B88: 0BB5B516
	v_mul_f32_e32 v219, v22, v219                              // 000000008B8C: 0BB7B716
	v_mul_f32_dpp v216, v12, v216 row_newbcast:12 row_mask:0xf bank_mask:0xf// 000000008B90: 0BB1B0FA FF015C0C
	v_mul_f32_dpp v217, v12, v217 row_newbcast:13 row_mask:0xf bank_mask:0xf// 000000008B98: 0BB3B2FA FF015D0C
	v_mul_f32_dpp v218, v12, v218 row_newbcast:14 row_mask:0xf bank_mask:0xf// 000000008BA0: 0BB5B4FA FF015E0C
	v_mul_f32_dpp v219, v12, v219 row_newbcast:15 row_mask:0xf bank_mask:0xf// 000000008BA8: 0BB7B6FA FF015F0C
	v_mul_f32_e32 v216, v17, v216                              // 000000008BB0: 0BB1B111
	v_mul_f32_e32 v217, v17, v217                              // 000000008BB4: 0BB3B311
	v_mul_f32_e32 v218, v17, v218                              // 000000008BB8: 0BB5B511
	v_mul_f32_e32 v219, v17, v219                              // 000000008BBC: 0BB7B711
	v_mul_f32_e32 v220, v23, v220                              // 000000008BC0: 0BB9B917
	v_mul_f32_e32 v221, v23, v221                              // 000000008BC4: 0BBBBB17
	v_mul_f32_e32 v222, v23, v222                              // 000000008BC8: 0BBDBD17
	v_mul_f32_e32 v223, v23, v223                              // 000000008BCC: 0BBFBF17
	v_mul_f32_dpp v220, v12, v220 row_newbcast:12 row_mask:0xf bank_mask:0xf// 000000008BD0: 0BB9B8FA FF015C0C
	v_mul_f32_dpp v221, v12, v221 row_newbcast:13 row_mask:0xf bank_mask:0xf// 000000008BD8: 0BBBBAFA FF015D0C
	v_mul_f32_dpp v222, v12, v222 row_newbcast:14 row_mask:0xf bank_mask:0xf// 000000008BE0: 0BBDBCFA FF015E0C
	v_mul_f32_dpp v223, v12, v223 row_newbcast:15 row_mask:0xf bank_mask:0xf// 000000008BE8: 0BBFBEFA FF015F0C
	v_mul_f32_e32 v220, v18, v220                              // 000000008BF0: 0BB9B912
	v_mul_f32_e32 v221, v18, v221                              // 000000008BF4: 0BBBBB12
	v_mul_f32_e32 v222, v18, v222                              // 000000008BF8: 0BBDBD12
	v_mul_f32_e32 v223, v18, v223                              // 000000008BFC: 0BBFBF12
	v_cmp_u_f32_e64 s[48:49], v192, v192                       // 000000008C00: D0480030 000381C0
	v_add3_u32 v40, v192, v43, 1                               // 000000008C08: D1FF0028 020657C0
	v_cndmask_b32_e64 v46, v40, v42, s[48:49]                  // 000000008C10: D100002E 00C25528
	v_cmp_u_f32_e64 s[48:49], v193, v193                       // 000000008C18: D0480030 000383C1
	v_add3_u32 v40, v193, v43, 1                               // 000000008C20: D1FF0028 020657C1
	v_cndmask_b32_e64 v47, v40, v42, s[48:49]                  // 000000008C28: D100002F 00C25528
	v_perm_b32 v192, v47, v46, s52                             // 000000008C30: D1ED00C0 00D25D2F
	v_cmp_u_f32_e64 s[48:49], v194, v194                       // 000000008C38: D0480030 000385C2
	v_add3_u32 v40, v194, v43, 1                               // 000000008C40: D1FF0028 020657C2
	v_cndmask_b32_e64 v46, v40, v42, s[48:49]                  // 000000008C48: D100002E 00C25528
	v_cmp_u_f32_e64 s[48:49], v195, v195                       // 000000008C50: D0480030 000387C3
	v_add3_u32 v40, v195, v43, 1                               // 000000008C58: D1FF0028 020657C3
	v_cndmask_b32_e64 v47, v40, v42, s[48:49]                  // 000000008C60: D100002F 00C25528
	v_perm_b32 v193, v47, v46, s52                             // 000000008C68: D1ED00C1 00D25D2F
	v_cmp_u_f32_e64 s[48:49], v196, v196                       // 000000008C70: D0480030 000389C4
	v_add3_u32 v40, v196, v43, 1                               // 000000008C78: D1FF0028 020657C4
	v_cndmask_b32_e64 v46, v40, v42, s[48:49]                  // 000000008C80: D100002E 00C25528
	v_cmp_u_f32_e64 s[48:49], v197, v197                       // 000000008C88: D0480030 00038BC5
	v_add3_u32 v40, v197, v43, 1                               // 000000008C90: D1FF0028 020657C5
	v_cndmask_b32_e64 v47, v40, v42, s[48:49]                  // 000000008C98: D100002F 00C25528
	v_perm_b32 v194, v47, v46, s52                             // 000000008CA0: D1ED00C2 00D25D2F
	v_cmp_u_f32_e64 s[48:49], v198, v198                       // 000000008CA8: D0480030 00038DC6
	v_add3_u32 v40, v198, v43, 1                               // 000000008CB0: D1FF0028 020657C6
	v_cndmask_b32_e64 v46, v40, v42, s[48:49]                  // 000000008CB8: D100002E 00C25528
	v_cmp_u_f32_e64 s[48:49], v199, v199                       // 000000008CC0: D0480030 00038FC7
	v_add3_u32 v40, v199, v43, 1                               // 000000008CC8: D1FF0028 020657C7
	v_cndmask_b32_e64 v47, v40, v42, s[48:49]                  // 000000008CD0: D100002F 00C25528
	v_perm_b32 v195, v47, v46, s52                             // 000000008CD8: D1ED00C3 00D25D2F
	v_cmp_u_f32_e64 s[48:49], v200, v200                       // 000000008CE0: D0480030 000391C8
	v_add3_u32 v40, v200, v43, 1                               // 000000008CE8: D1FF0028 020657C8
	v_cndmask_b32_e64 v46, v40, v42, s[48:49]                  // 000000008CF0: D100002E 00C25528
	v_cmp_u_f32_e64 s[48:49], v201, v201                       // 000000008CF8: D0480030 000393C9
	v_add3_u32 v40, v201, v43, 1                               // 000000008D00: D1FF0028 020657C9
	v_cndmask_b32_e64 v47, v40, v42, s[48:49]                  // 000000008D08: D100002F 00C25528
	v_perm_b32 v196, v47, v46, s52                             // 000000008D10: D1ED00C4 00D25D2F
	v_cmp_u_f32_e64 s[48:49], v202, v202                       // 000000008D18: D0480030 000395CA
	v_add3_u32 v40, v202, v43, 1                               // 000000008D20: D1FF0028 020657CA
	v_cndmask_b32_e64 v46, v40, v42, s[48:49]                  // 000000008D28: D100002E 00C25528
	v_cmp_u_f32_e64 s[48:49], v203, v203                       // 000000008D30: D0480030 000397CB
	v_add3_u32 v40, v203, v43, 1                               // 000000008D38: D1FF0028 020657CB
	v_cndmask_b32_e64 v47, v40, v42, s[48:49]                  // 000000008D40: D100002F 00C25528
	v_perm_b32 v197, v47, v46, s52                             // 000000008D48: D1ED00C5 00D25D2F
	v_cmp_u_f32_e64 s[48:49], v204, v204                       // 000000008D50: D0480030 000399CC
	v_add3_u32 v40, v204, v43, 1                               // 000000008D58: D1FF0028 020657CC
	v_cndmask_b32_e64 v46, v40, v42, s[48:49]                  // 000000008D60: D100002E 00C25528
	v_cmp_u_f32_e64 s[48:49], v205, v205                       // 000000008D68: D0480030 00039BCD
	v_add3_u32 v40, v205, v43, 1                               // 000000008D70: D1FF0028 020657CD
	v_cndmask_b32_e64 v47, v40, v42, s[48:49]                  // 000000008D78: D100002F 00C25528
	v_perm_b32 v198, v47, v46, s52                             // 000000008D80: D1ED00C6 00D25D2F
	v_cmp_u_f32_e64 s[48:49], v206, v206                       // 000000008D88: D0480030 00039DCE
	v_add3_u32 v40, v206, v43, 1                               // 000000008D90: D1FF0028 020657CE
	v_cndmask_b32_e64 v46, v40, v42, s[48:49]                  // 000000008D98: D100002E 00C25528
	v_cmp_u_f32_e64 s[48:49], v207, v207                       // 000000008DA0: D0480030 00039FCF
	v_add3_u32 v40, v207, v43, 1                               // 000000008DA8: D1FF0028 020657CF
	v_cndmask_b32_e64 v47, v40, v42, s[48:49]                  // 000000008DB0: D100002F 00C25528
	v_perm_b32 v199, v47, v46, s52                             // 000000008DB8: D1ED00C7 00D25D2F
	v_cmp_u_f32_e64 s[48:49], v208, v208                       // 000000008DC0: D0480030 0003A1D0
	v_add3_u32 v40, v208, v43, 1                               // 000000008DC8: D1FF0028 020657D0
	v_cndmask_b32_e64 v46, v40, v42, s[48:49]                  // 000000008DD0: D100002E 00C25528
	v_cmp_u_f32_e64 s[48:49], v209, v209                       // 000000008DD8: D0480030 0003A3D1
	v_add3_u32 v40, v209, v43, 1                               // 000000008DE0: D1FF0028 020657D1
	v_cndmask_b32_e64 v47, v40, v42, s[48:49]                  // 000000008DE8: D100002F 00C25528
	v_perm_b32 v200, v47, v46, s52                             // 000000008DF0: D1ED00C8 00D25D2F
	v_cmp_u_f32_e64 s[48:49], v210, v210                       // 000000008DF8: D0480030 0003A5D2
	v_add3_u32 v40, v210, v43, 1                               // 000000008E00: D1FF0028 020657D2
	v_cndmask_b32_e64 v46, v40, v42, s[48:49]                  // 000000008E08: D100002E 00C25528
	v_cmp_u_f32_e64 s[48:49], v211, v211                       // 000000008E10: D0480030 0003A7D3
	v_add3_u32 v40, v211, v43, 1                               // 000000008E18: D1FF0028 020657D3
	v_cndmask_b32_e64 v47, v40, v42, s[48:49]                  // 000000008E20: D100002F 00C25528
	v_perm_b32 v201, v47, v46, s52                             // 000000008E28: D1ED00C9 00D25D2F
	v_cmp_u_f32_e64 s[48:49], v212, v212                       // 000000008E30: D0480030 0003A9D4
	v_add3_u32 v40, v212, v43, 1                               // 000000008E38: D1FF0028 020657D4
	v_cndmask_b32_e64 v46, v40, v42, s[48:49]                  // 000000008E40: D100002E 00C25528
	v_cmp_u_f32_e64 s[48:49], v213, v213                       // 000000008E48: D0480030 0003ABD5
	v_add3_u32 v40, v213, v43, 1                               // 000000008E50: D1FF0028 020657D5
	v_cndmask_b32_e64 v47, v40, v42, s[48:49]                  // 000000008E58: D100002F 00C25528
	v_perm_b32 v202, v47, v46, s52                             // 000000008E60: D1ED00CA 00D25D2F
	v_cmp_u_f32_e64 s[48:49], v214, v214                       // 000000008E68: D0480030 0003ADD6
	v_add3_u32 v40, v214, v43, 1                               // 000000008E70: D1FF0028 020657D6
	v_cndmask_b32_e64 v46, v40, v42, s[48:49]                  // 000000008E78: D100002E 00C25528
	v_cmp_u_f32_e64 s[48:49], v215, v215                       // 000000008E80: D0480030 0003AFD7
	v_add3_u32 v40, v215, v43, 1                               // 000000008E88: D1FF0028 020657D7
	v_cndmask_b32_e64 v47, v40, v42, s[48:49]                  // 000000008E90: D100002F 00C25528
	v_perm_b32 v203, v47, v46, s52                             // 000000008E98: D1ED00CB 00D25D2F
	v_cmp_u_f32_e64 s[48:49], v216, v216                       // 000000008EA0: D0480030 0003B1D8
	v_add3_u32 v40, v216, v43, 1                               // 000000008EA8: D1FF0028 020657D8
	v_cndmask_b32_e64 v46, v40, v42, s[48:49]                  // 000000008EB0: D100002E 00C25528
	v_cmp_u_f32_e64 s[48:49], v217, v217                       // 000000008EB8: D0480030 0003B3D9
	v_add3_u32 v40, v217, v43, 1                               // 000000008EC0: D1FF0028 020657D9
	v_cndmask_b32_e64 v47, v40, v42, s[48:49]                  // 000000008EC8: D100002F 00C25528
	v_perm_b32 v204, v47, v46, s52                             // 000000008ED0: D1ED00CC 00D25D2F
	v_cmp_u_f32_e64 s[48:49], v218, v218                       // 000000008ED8: D0480030 0003B5DA
	v_add3_u32 v40, v218, v43, 1                               // 000000008EE0: D1FF0028 020657DA
	v_cndmask_b32_e64 v46, v40, v42, s[48:49]                  // 000000008EE8: D100002E 00C25528
	v_cmp_u_f32_e64 s[48:49], v219, v219                       // 000000008EF0: D0480030 0003B7DB
	v_add3_u32 v40, v219, v43, 1                               // 000000008EF8: D1FF0028 020657DB
	v_cndmask_b32_e64 v47, v40, v42, s[48:49]                  // 000000008F00: D100002F 00C25528
	v_perm_b32 v205, v47, v46, s52                             // 000000008F08: D1ED00CD 00D25D2F
	v_cmp_u_f32_e64 s[48:49], v220, v220                       // 000000008F10: D0480030 0003B9DC
	v_add3_u32 v40, v220, v43, 1                               // 000000008F18: D1FF0028 020657DC
	v_cndmask_b32_e64 v46, v40, v42, s[48:49]                  // 000000008F20: D100002E 00C25528
	v_cmp_u_f32_e64 s[48:49], v221, v221                       // 000000008F28: D0480030 0003BBDD
	v_add3_u32 v40, v221, v43, 1                               // 000000008F30: D1FF0028 020657DD
	v_cndmask_b32_e64 v47, v40, v42, s[48:49]                  // 000000008F38: D100002F 00C25528
	v_perm_b32 v206, v47, v46, s52                             // 000000008F40: D1ED00CE 00D25D2F
	v_cmp_u_f32_e64 s[48:49], v222, v222                       // 000000008F48: D0480030 0003BDDE
	v_add3_u32 v40, v222, v43, 1                               // 000000008F50: D1FF0028 020657DE
	v_cndmask_b32_e64 v46, v40, v42, s[48:49]                  // 000000008F58: D100002E 00C25528
	v_cmp_u_f32_e64 s[48:49], v223, v223                       // 000000008F60: D0480030 0003BFDF
	v_add3_u32 v40, v223, v43, 1                               // 000000008F68: D1FF0028 020657DF
	v_cndmask_b32_e64 v47, v40, v42, s[48:49]                  // 000000008F70: D100002F 00C25528
	v_perm_b32 v207, v47, v46, s52                             // 000000008F78: D1ED00CF 00D25D2F
	ds_write_b64 v3, v[192:193] offset:26880                   // 000000008F80: D89A6900 0000C003
	ds_write_b64 v3, v[194:195] offset:35584                   // 000000008F88: D89A8B00 0000C203
	ds_write_b64 v3, v[196:197] offset:29056                   // 000000008F90: D89A7180 0000C403
	ds_write_b64 v3, v[198:199] offset:37760                   // 000000008F98: D89A9380 0000C603
	ds_write_b64 v3, v[200:201] offset:31232                   // 000000008FA0: D89A7A00 0000C803
	ds_write_b64 v3, v[202:203] offset:39936                   // 000000008FA8: D89A9C00 0000CA03
	ds_write_b64 v3, v[204:205] offset:33408                   // 000000008FB0: D89A8280 0000CC03
	ds_write_b64 v3, v[206:207] offset:42112                   // 000000008FB8: D89AA480 0000CE03
	s_waitcnt lgkmcnt(0)                                       // 000000008FC0: BF8CC07F
	s_barrier                                                  // 000000008FC4: BF8A0000
	ds_read_b32 v64, v4 offset:26880                           // 000000008FC8: D86C6900 40000004
	ds_read_b32 v65, v4 offset:31232                           // 000000008FD0: D86C7A00 41000004
	ds_read_b32 v66, v4 offset:26912                           // 000000008FD8: D86C6920 42000004
	ds_read_b32 v67, v4 offset:31264                           // 000000008FE0: D86C7A20 43000004
	ds_read_b32 v68, v4 offset:26944                           // 000000008FE8: D86C6940 44000004
	ds_read_b32 v69, v4 offset:31296                           // 000000008FF0: D86C7A40 45000004
	ds_read_b32 v70, v4 offset:26976                           // 000000008FF8: D86C6960 46000004
	ds_read_b32 v71, v4 offset:31328                           // 000000009000: D86C7A60 47000004
	ds_read_b32 v72, v4 offset:35584                           // 000000009008: D86C8B00 48000004
	ds_read_b32 v73, v4 offset:39936                           // 000000009010: D86C9C00 49000004
	ds_read_b32 v74, v4 offset:35616                           // 000000009018: D86C8B20 4A000004
	ds_read_b32 v75, v4 offset:39968                           // 000000009020: D86C9C20 4B000004
	ds_read_b32 v76, v4 offset:35648                           // 000000009028: D86C8B40 4C000004
	ds_read_b32 v77, v4 offset:40000                           // 000000009030: D86C9C40 4D000004
	ds_read_b32 v78, v4 offset:35680                           // 000000009038: D86C8B60 4E000004
	ds_read_b32 v79, v4 offset:40032                           // 000000009040: D86C9C60 4F000004
	s_waitcnt lgkmcnt(0)                                       // 000000009048: BF8CC07F
	s_mov_b64 exec, s[20:21]                                   // 00000000904C: BEFE0114
	global_atomic_pk_add_bf16 v80, v64, s[8:9]                 // 000000009050: DD488000 00084050
	s_mov_b64 exec, s[36:37]                                   // 000000009058: BEFE0124
	s_mov_b64 exec, s[20:21]                                   // 00000000905C: BEFE0114
	global_atomic_pk_add_bf16 v80, v65, s[8:9] offset:256      // 000000009060: DD488100 00084150
	s_mov_b64 exec, s[36:37]                                   // 000000009068: BEFE0124
	s_mov_b64 exec, s[22:23]                                   // 00000000906C: BEFE0116
	global_atomic_pk_add_bf16 v82, v66, s[8:9]                 // 000000009070: DD488000 00084252
	s_mov_b64 exec, s[36:37]                                   // 000000009078: BEFE0124
	s_mov_b64 exec, s[22:23]                                   // 00000000907C: BEFE0116
	global_atomic_pk_add_bf16 v82, v67, s[8:9] offset:256      // 000000009080: DD488100 00084352
	s_mov_b64 exec, s[36:37]                                   // 000000009088: BEFE0124
	s_mov_b64 exec, s[24:25]                                   // 00000000908C: BEFE0118
	global_atomic_pk_add_bf16 v84, v68, s[8:9]                 // 000000009090: DD488000 00084454
	s_mov_b64 exec, s[36:37]                                   // 000000009098: BEFE0124
	s_mov_b64 exec, s[24:25]                                   // 00000000909C: BEFE0118
	global_atomic_pk_add_bf16 v84, v69, s[8:9] offset:256      // 0000000090A0: DD488100 00084554
	s_mov_b64 exec, s[36:37]                                   // 0000000090A8: BEFE0124
	s_mov_b64 exec, s[26:27]                                   // 0000000090AC: BEFE011A
	global_atomic_pk_add_bf16 v86, v70, s[8:9]                 // 0000000090B0: DD488000 00084656
	s_mov_b64 exec, s[36:37]                                   // 0000000090B8: BEFE0124
	s_mov_b64 exec, s[26:27]                                   // 0000000090BC: BEFE011A
	global_atomic_pk_add_bf16 v86, v71, s[8:9] offset:256      // 0000000090C0: DD488100 00084756
	s_mov_b64 exec, s[36:37]                                   // 0000000090C8: BEFE0124
	s_mov_b64 exec, s[28:29]                                   // 0000000090CC: BEFE011C
	global_atomic_pk_add_bf16 v88, v72, s[8:9]                 // 0000000090D0: DD488000 00084858
	s_mov_b64 exec, s[36:37]                                   // 0000000090D8: BEFE0124
	s_mov_b64 exec, s[28:29]                                   // 0000000090DC: BEFE011C
	global_atomic_pk_add_bf16 v88, v73, s[8:9] offset:256      // 0000000090E0: DD488100 00084958
	s_mov_b64 exec, s[36:37]                                   // 0000000090E8: BEFE0124
	s_mov_b64 exec, s[30:31]                                   // 0000000090EC: BEFE011E
	global_atomic_pk_add_bf16 v90, v74, s[8:9]                 // 0000000090F0: DD488000 00084A5A
	s_mov_b64 exec, s[36:37]                                   // 0000000090F8: BEFE0124
	s_mov_b64 exec, s[30:31]                                   // 0000000090FC: BEFE011E
	global_atomic_pk_add_bf16 v90, v75, s[8:9] offset:256      // 000000009100: DD488100 00084B5A
	s_mov_b64 exec, s[36:37]                                   // 000000009108: BEFE0124
	s_mov_b64 exec, s[32:33]                                   // 00000000910C: BEFE0120
	global_atomic_pk_add_bf16 v92, v76, s[8:9]                 // 000000009110: DD488000 00084C5C
	s_mov_b64 exec, s[36:37]                                   // 000000009118: BEFE0124
	s_mov_b64 exec, s[32:33]                                   // 00000000911C: BEFE0120
	global_atomic_pk_add_bf16 v92, v77, s[8:9] offset:256      // 000000009120: DD488100 00084D5C
	s_mov_b64 exec, s[36:37]                                   // 000000009128: BEFE0124
	s_mov_b64 exec, s[34:35]                                   // 00000000912C: BEFE0122
	global_atomic_pk_add_bf16 v94, v78, s[8:9]                 // 000000009130: DD488000 00084E5E
	s_mov_b64 exec, s[36:37]                                   // 000000009138: BEFE0124
	s_mov_b64 exec, s[34:35]                                   // 00000000913C: BEFE0122
	global_atomic_pk_add_bf16 v94, v79, s[8:9] offset:256      // 000000009140: DD488100 00084F5E
	s_mov_b64 exec, s[36:37]                                   // 000000009148: BEFE0124
	s_add_u32 s8, s59, s8                                      // 00000000914C: 8008083B
	s_addc_u32 s9, 0, s9                                       // 000000009150: 82090980
	s_addk_i32 s80, 0x100                                      // 000000009154: B7500100
	s_cmp_lt_i32 s80, s81                                      // 000000009158: BF045150
	s_cbranch_scc0 label_0E04                                  // 00000000915C: BF84F46C
	s_branch label_147A                                        // 000000009160: BF82FAE1

0000000000009164 <label_1999>:
	s_waitcnt vmcnt(0) expcnt(0) lgkmcnt(0)                    // 000000009164: BF8C0000
	s_endpgm                                                   // 000000009168: BF810000
